;; amdgpu-corpus repo=ROCm/rocFFT kind=compiled arch=gfx1030 opt=O3
	.text
	.amdgcn_target "amdgcn-amd-amdhsa--gfx1030"
	.amdhsa_code_object_version 6
	.protected	fft_rtc_back_len3200_factors_10_10_4_4_2_wgs_160_tpt_160_halfLds_dp_op_CI_CI_unitstride_sbrr_dirReg ; -- Begin function fft_rtc_back_len3200_factors_10_10_4_4_2_wgs_160_tpt_160_halfLds_dp_op_CI_CI_unitstride_sbrr_dirReg
	.globl	fft_rtc_back_len3200_factors_10_10_4_4_2_wgs_160_tpt_160_halfLds_dp_op_CI_CI_unitstride_sbrr_dirReg
	.p2align	8
	.type	fft_rtc_back_len3200_factors_10_10_4_4_2_wgs_160_tpt_160_halfLds_dp_op_CI_CI_unitstride_sbrr_dirReg,@function
fft_rtc_back_len3200_factors_10_10_4_4_2_wgs_160_tpt_160_halfLds_dp_op_CI_CI_unitstride_sbrr_dirReg: ; @fft_rtc_back_len3200_factors_10_10_4_4_2_wgs_160_tpt_160_halfLds_dp_op_CI_CI_unitstride_sbrr_dirReg
; %bb.0:
	s_clause 0x2
	s_load_dwordx4 s[12:15], s[4:5], 0x0
	s_load_dwordx4 s[8:11], s[4:5], 0x58
	;; [unrolled: 1-line block ×3, first 2 shown]
	v_mul_u32_u24_e32 v2, 0x19a, v0
	v_mov_b32_e32 v1, 0
	v_mov_b32_e32 v4, 0
	;; [unrolled: 1-line block ×3, first 2 shown]
	v_add_nc_u32_sdwa v6, s6, v2 dst_sel:DWORD dst_unused:UNUSED_PAD src0_sel:DWORD src1_sel:WORD_1
	v_mov_b32_e32 v7, v1
	s_waitcnt lgkmcnt(0)
	v_cmp_lt_u64_e64 s0, s[14:15], 2
	s_and_b32 vcc_lo, exec_lo, s0
	s_cbranch_vccnz .LBB0_8
; %bb.1:
	s_load_dwordx2 s[0:1], s[4:5], 0x10
	v_mov_b32_e32 v4, 0
	v_mov_b32_e32 v5, 0
	s_add_u32 s2, s18, 8
	s_addc_u32 s3, s19, 0
	s_add_u32 s6, s16, 8
	s_addc_u32 s7, s17, 0
	v_mov_b32_e32 v89, v5
	v_mov_b32_e32 v88, v4
	s_mov_b64 s[22:23], 1
	s_waitcnt lgkmcnt(0)
	s_add_u32 s20, s0, 8
	s_addc_u32 s21, s1, 0
.LBB0_2:                                ; =>This Inner Loop Header: Depth=1
	s_load_dwordx2 s[24:25], s[20:21], 0x0
                                        ; implicit-def: $vgpr92_vgpr93
	s_mov_b32 s0, exec_lo
	s_waitcnt lgkmcnt(0)
	v_or_b32_e32 v2, s25, v7
	v_cmpx_ne_u64_e32 0, v[1:2]
	s_xor_b32 s1, exec_lo, s0
	s_cbranch_execz .LBB0_4
; %bb.3:                                ;   in Loop: Header=BB0_2 Depth=1
	v_cvt_f32_u32_e32 v2, s24
	v_cvt_f32_u32_e32 v3, s25
	s_sub_u32 s0, 0, s24
	s_subb_u32 s26, 0, s25
	v_fmac_f32_e32 v2, 0x4f800000, v3
	v_rcp_f32_e32 v2, v2
	v_mul_f32_e32 v2, 0x5f7ffffc, v2
	v_mul_f32_e32 v3, 0x2f800000, v2
	v_trunc_f32_e32 v3, v3
	v_fmac_f32_e32 v2, 0xcf800000, v3
	v_cvt_u32_f32_e32 v3, v3
	v_cvt_u32_f32_e32 v2, v2
	v_mul_lo_u32 v8, s0, v3
	v_mul_hi_u32 v9, s0, v2
	v_mul_lo_u32 v10, s26, v2
	v_add_nc_u32_e32 v8, v9, v8
	v_mul_lo_u32 v9, s0, v2
	v_add_nc_u32_e32 v8, v8, v10
	v_mul_hi_u32 v10, v2, v9
	v_mul_lo_u32 v11, v2, v8
	v_mul_hi_u32 v12, v2, v8
	v_mul_hi_u32 v13, v3, v9
	v_mul_lo_u32 v9, v3, v9
	v_mul_hi_u32 v14, v3, v8
	v_mul_lo_u32 v8, v3, v8
	v_add_co_u32 v10, vcc_lo, v10, v11
	v_add_co_ci_u32_e32 v11, vcc_lo, 0, v12, vcc_lo
	v_add_co_u32 v9, vcc_lo, v10, v9
	v_add_co_ci_u32_e32 v9, vcc_lo, v11, v13, vcc_lo
	v_add_co_ci_u32_e32 v10, vcc_lo, 0, v14, vcc_lo
	v_add_co_u32 v8, vcc_lo, v9, v8
	v_add_co_ci_u32_e32 v9, vcc_lo, 0, v10, vcc_lo
	v_add_co_u32 v2, vcc_lo, v2, v8
	v_add_co_ci_u32_e32 v3, vcc_lo, v3, v9, vcc_lo
	v_mul_hi_u32 v8, s0, v2
	v_mul_lo_u32 v10, s26, v2
	v_mul_lo_u32 v9, s0, v3
	v_add_nc_u32_e32 v8, v8, v9
	v_mul_lo_u32 v9, s0, v2
	v_add_nc_u32_e32 v8, v8, v10
	v_mul_hi_u32 v10, v2, v9
	v_mul_lo_u32 v11, v2, v8
	v_mul_hi_u32 v12, v2, v8
	v_mul_hi_u32 v13, v3, v9
	v_mul_lo_u32 v9, v3, v9
	v_mul_hi_u32 v14, v3, v8
	v_mul_lo_u32 v8, v3, v8
	v_add_co_u32 v10, vcc_lo, v10, v11
	v_add_co_ci_u32_e32 v11, vcc_lo, 0, v12, vcc_lo
	v_add_co_u32 v9, vcc_lo, v10, v9
	v_add_co_ci_u32_e32 v9, vcc_lo, v11, v13, vcc_lo
	v_add_co_ci_u32_e32 v10, vcc_lo, 0, v14, vcc_lo
	v_add_co_u32 v8, vcc_lo, v9, v8
	v_add_co_ci_u32_e32 v9, vcc_lo, 0, v10, vcc_lo
	v_add_co_u32 v8, vcc_lo, v2, v8
	v_add_co_ci_u32_e32 v10, vcc_lo, v3, v9, vcc_lo
	v_mul_hi_u32 v12, v6, v8
	v_mad_u64_u32 v[8:9], null, v7, v8, 0
	v_mad_u64_u32 v[2:3], null, v6, v10, 0
	;; [unrolled: 1-line block ×3, first 2 shown]
	v_add_co_u32 v2, vcc_lo, v12, v2
	v_add_co_ci_u32_e32 v3, vcc_lo, 0, v3, vcc_lo
	v_add_co_u32 v2, vcc_lo, v2, v8
	v_add_co_ci_u32_e32 v2, vcc_lo, v3, v9, vcc_lo
	v_add_co_ci_u32_e32 v3, vcc_lo, 0, v11, vcc_lo
	v_add_co_u32 v8, vcc_lo, v2, v10
	v_add_co_ci_u32_e32 v9, vcc_lo, 0, v3, vcc_lo
	v_mul_lo_u32 v10, s25, v8
	v_mad_u64_u32 v[2:3], null, s24, v8, 0
	v_mul_lo_u32 v11, s24, v9
	v_sub_co_u32 v2, vcc_lo, v6, v2
	v_add3_u32 v3, v3, v11, v10
	v_sub_nc_u32_e32 v10, v7, v3
	v_subrev_co_ci_u32_e64 v10, s0, s25, v10, vcc_lo
	v_add_co_u32 v11, s0, v8, 2
	v_add_co_ci_u32_e64 v12, s0, 0, v9, s0
	v_sub_co_u32 v13, s0, v2, s24
	v_sub_co_ci_u32_e32 v3, vcc_lo, v7, v3, vcc_lo
	v_subrev_co_ci_u32_e64 v10, s0, 0, v10, s0
	v_cmp_le_u32_e32 vcc_lo, s24, v13
	v_cmp_eq_u32_e64 s0, s25, v3
	v_cndmask_b32_e64 v13, 0, -1, vcc_lo
	v_cmp_le_u32_e32 vcc_lo, s25, v10
	v_cndmask_b32_e64 v14, 0, -1, vcc_lo
	v_cmp_le_u32_e32 vcc_lo, s24, v2
	;; [unrolled: 2-line block ×3, first 2 shown]
	v_cndmask_b32_e64 v15, 0, -1, vcc_lo
	v_cmp_eq_u32_e32 vcc_lo, s25, v10
	v_cndmask_b32_e64 v2, v15, v2, s0
	v_cndmask_b32_e32 v10, v14, v13, vcc_lo
	v_add_co_u32 v13, vcc_lo, v8, 1
	v_add_co_ci_u32_e32 v14, vcc_lo, 0, v9, vcc_lo
	v_cmp_ne_u32_e32 vcc_lo, 0, v10
	v_cndmask_b32_e32 v3, v14, v12, vcc_lo
	v_cndmask_b32_e32 v10, v13, v11, vcc_lo
	v_cmp_ne_u32_e32 vcc_lo, 0, v2
	v_cndmask_b32_e32 v93, v9, v3, vcc_lo
	v_cndmask_b32_e32 v92, v8, v10, vcc_lo
.LBB0_4:                                ;   in Loop: Header=BB0_2 Depth=1
	s_andn2_saveexec_b32 s0, s1
	s_cbranch_execz .LBB0_6
; %bb.5:                                ;   in Loop: Header=BB0_2 Depth=1
	v_cvt_f32_u32_e32 v2, s24
	s_sub_i32 s1, 0, s24
	v_mov_b32_e32 v93, v1
	v_rcp_iflag_f32_e32 v2, v2
	v_mul_f32_e32 v2, 0x4f7ffffe, v2
	v_cvt_u32_f32_e32 v2, v2
	v_mul_lo_u32 v3, s1, v2
	v_mul_hi_u32 v3, v2, v3
	v_add_nc_u32_e32 v2, v2, v3
	v_mul_hi_u32 v2, v6, v2
	v_mul_lo_u32 v3, v2, s24
	v_add_nc_u32_e32 v8, 1, v2
	v_sub_nc_u32_e32 v3, v6, v3
	v_subrev_nc_u32_e32 v9, s24, v3
	v_cmp_le_u32_e32 vcc_lo, s24, v3
	v_cndmask_b32_e32 v3, v3, v9, vcc_lo
	v_cndmask_b32_e32 v2, v2, v8, vcc_lo
	v_cmp_le_u32_e32 vcc_lo, s24, v3
	v_add_nc_u32_e32 v8, 1, v2
	v_cndmask_b32_e32 v92, v2, v8, vcc_lo
.LBB0_6:                                ;   in Loop: Header=BB0_2 Depth=1
	s_or_b32 exec_lo, exec_lo, s0
	v_mul_lo_u32 v8, v93, s24
	v_mul_lo_u32 v9, v92, s25
	s_load_dwordx2 s[0:1], s[6:7], 0x0
	v_mad_u64_u32 v[2:3], null, v92, s24, 0
	s_load_dwordx2 s[24:25], s[2:3], 0x0
	s_add_u32 s22, s22, 1
	s_addc_u32 s23, s23, 0
	s_add_u32 s2, s2, 8
	s_addc_u32 s3, s3, 0
	s_add_u32 s6, s6, 8
	v_add3_u32 v3, v3, v9, v8
	v_sub_co_u32 v2, vcc_lo, v6, v2
	s_addc_u32 s7, s7, 0
	s_add_u32 s20, s20, 8
	v_sub_co_ci_u32_e32 v3, vcc_lo, v7, v3, vcc_lo
	s_addc_u32 s21, s21, 0
	s_waitcnt lgkmcnt(0)
	v_mul_lo_u32 v6, s0, v3
	v_mul_lo_u32 v7, s1, v2
	v_mad_u64_u32 v[4:5], null, s0, v2, v[4:5]
	v_mul_lo_u32 v3, s24, v3
	v_mul_lo_u32 v8, s25, v2
	v_mad_u64_u32 v[88:89], null, s24, v2, v[88:89]
	v_cmp_ge_u64_e64 s0, s[22:23], s[14:15]
	v_add3_u32 v5, v7, v5, v6
	v_add3_u32 v89, v8, v89, v3
	s_and_b32 vcc_lo, exec_lo, s0
	s_cbranch_vccnz .LBB0_9
; %bb.7:                                ;   in Loop: Header=BB0_2 Depth=1
	v_mov_b32_e32 v6, v92
	v_mov_b32_e32 v7, v93
	s_branch .LBB0_2
.LBB0_8:
	v_mov_b32_e32 v89, v5
	v_mov_b32_e32 v93, v7
	;; [unrolled: 1-line block ×4, first 2 shown]
.LBB0_9:
	s_load_dwordx2 s[0:1], s[4:5], 0x28
	v_mul_hi_u32 v1, 0x199999a, v0
	s_lshl_b64 s[4:5], s[14:15], 3
                                        ; implicit-def: $vgpr90
                                        ; implicit-def: $vgpr94
	s_add_u32 s2, s18, s4
	s_addc_u32 s3, s19, s5
	s_waitcnt lgkmcnt(0)
	v_cmp_gt_u64_e32 vcc_lo, s[0:1], v[92:93]
	v_cmp_le_u64_e64 s0, s[0:1], v[92:93]
	s_and_saveexec_b32 s1, s0
	s_xor_b32 s0, exec_lo, s1
; %bb.10:
	v_mul_u32_u24_e32 v1, 0xa0, v1
                                        ; implicit-def: $vgpr4_vgpr5
	v_sub_nc_u32_e32 v90, v0, v1
                                        ; implicit-def: $vgpr1
                                        ; implicit-def: $vgpr0
	v_or_b32_e32 v94, 0x500, v90
; %bb.11:
	s_or_saveexec_b32 s1, s0
                                        ; implicit-def: $vgpr74_vgpr75
                                        ; implicit-def: $vgpr78_vgpr79
                                        ; implicit-def: $vgpr34_vgpr35
                                        ; implicit-def: $vgpr54_vgpr55
                                        ; implicit-def: $vgpr46_vgpr47
                                        ; implicit-def: $vgpr6_vgpr7
                                        ; implicit-def: $vgpr18_vgpr19
                                        ; implicit-def: $vgpr62_vgpr63
                                        ; implicit-def: $vgpr14_vgpr15
                                        ; implicit-def: $vgpr26_vgpr27
                                        ; implicit-def: $vgpr10_vgpr11
                                        ; implicit-def: $vgpr38_vgpr39
                                        ; implicit-def: $vgpr22_vgpr23
                                        ; implicit-def: $vgpr66_vgpr67
                                        ; implicit-def: $vgpr30_vgpr31
                                        ; implicit-def: $vgpr50_vgpr51
                                        ; implicit-def: $vgpr58_vgpr59
                                        ; implicit-def: $vgpr42_vgpr43
                                        ; implicit-def: $vgpr70_vgpr71
                                        ; implicit-def: $vgpr2_vgpr3
	s_xor_b32 exec_lo, exec_lo, s1
	s_cbranch_execz .LBB0_13
; %bb.12:
	s_add_u32 s4, s16, s4
	s_addc_u32 s5, s17, s5
	v_mul_u32_u24_e32 v1, 0xa0, v1
	s_load_dwordx2 s[4:5], s[4:5], 0x0
	v_sub_nc_u32_e32 v90, v0, v1
	v_or_b32_e32 v94, 0x500, v90
	s_waitcnt lgkmcnt(0)
	v_mul_lo_u32 v6, s5, v92
	v_mul_lo_u32 v7, s4, v93
	v_mad_u64_u32 v[2:3], null, s4, v92, 0
	v_add3_u32 v3, v3, v7, v6
	v_lshlrev_b32_e32 v6, 4, v94
	v_lshlrev_b64 v[0:1], 4, v[2:3]
	v_lshlrev_b64 v[2:3], 4, v[4:5]
	v_lshlrev_b32_e32 v4, 4, v90
	v_add_co_u32 v0, s0, s8, v0
	v_add_co_ci_u32_e64 v1, s0, s9, v1, s0
	v_or_b32_e32 v22, 0xa000, v4
	v_add_co_u32 v20, s0, v0, v2
	v_add_co_ci_u32_e64 v21, s0, v1, v3, s0
	v_add_co_u32 v4, s0, v20, v4
	v_add_co_ci_u32_e64 v5, s0, 0, v21, s0
	;; [unrolled: 2-line block ×9, first 2 shown]
	s_clause 0x5
	global_load_dwordx4 v[0:3], v[4:5], off
	global_load_dwordx4 v[72:75], v[8:9], off offset:1024
	global_load_dwordx4 v[76:79], v[10:11], off
	global_load_dwordx4 v[68:71], v[12:13], off offset:1024
	;; [unrolled: 2-line block ×3, first 2 shown]
	v_add_co_u32 v6, s0, v20, v22
	v_add_co_ci_u32_e64 v7, s0, 0, v21, s0
	v_add_co_u32 v8, s0, 0xb000, v4
	v_add_co_ci_u32_e64 v9, s0, 0, v5, s0
	;; [unrolled: 2-line block ×12, first 2 shown]
	s_clause 0xd
	global_load_dwordx4 v[52:55], v[16:17], off
	global_load_dwordx4 v[56:59], v[18:19], off offset:1024
	global_load_dwordx4 v[48:51], v[6:7], off
	global_load_dwordx4 v[44:47], v[8:9], off offset:1024
	global_load_dwordx4 v[4:7], v[10:11], off offset:512
	;; [unrolled: 1-line block ×11, first 2 shown]
.LBB0_13:
	s_or_b32 exec_lo, exec_lo, s1
	s_waitcnt vmcnt(12)
	v_add_f64 v[82:83], v[34:35], v[58:59]
	s_waitcnt vmcnt(10)
	v_add_f64 v[84:85], v[46:47], v[70:71]
	v_add_f64 v[105:106], v[32:33], v[56:57]
	;; [unrolled: 1-line block ×3, first 2 shown]
	v_add_f64 v[117:118], v[68:69], -v[44:45]
	v_add_f64 v[119:120], v[32:33], -v[56:57]
	s_mov_b32 s6, 0x134454ff
	s_mov_b32 s7, 0xbfee6f0e
	;; [unrolled: 1-line block ×4, first 2 shown]
	v_add_f64 v[86:87], v[52:53], v[40:41]
	v_add_f64 v[95:96], v[76:77], v[48:49]
	v_add_f64 v[121:122], v[72:73], v[68:69]
	v_add_f64 v[123:124], v[74:75], v[70:71]
	v_add_f64 v[133:134], v[70:71], -v[46:47]
	v_add_f64 v[135:136], v[70:71], -v[34:35]
	v_add_f64 v[137:138], v[46:47], -v[58:59]
	v_add_f64 v[70:71], v[34:35], -v[70:71]
	v_add_f64 v[139:140], v[34:35], -v[58:59]
	v_add_f64 v[141:142], v[58:59], -v[46:47]
	s_mov_b32 s8, 0x4755a5e
	s_mov_b32 s9, 0xbfe2cf23
	v_fma_f64 v[82:83], v[82:83], -0.5, v[74:75]
	v_fma_f64 v[84:85], v[84:85], -0.5, v[74:75]
	;; [unrolled: 1-line block ×4, first 2 shown]
	s_mov_b32 s5, 0x3fe2cf23
	s_mov_b32 s4, s8
	v_add_f64 v[97:98], v[76:77], v[0:1]
	v_add_f64 v[109:110], v[78:79], -v[50:51]
	v_add_f64 v[115:116], v[42:43], -v[54:55]
	;; [unrolled: 1-line block ×6, first 2 shown]
	v_fma_f64 v[86:87], v[86:87], -0.5, v[0:1]
	v_fma_f64 v[0:1], v[95:96], -0.5, v[0:1]
	s_mov_b32 s14, 0x372fe950
	v_add_f64 v[95:96], v[137:138], v[135:136]
	s_mov_b32 s15, 0x3fd3c6ef
	v_add_f64 v[99:100], v[78:79], v[2:3]
	v_add_f64 v[70:71], v[141:142], v[70:71]
	v_add_f64 v[111:112], v[76:77], -v[40:41]
	v_add_f64 v[113:114], v[40:41], -v[76:77]
	v_fma_f64 v[107:108], v[117:118], s[0:1], v[82:83]
	v_fma_f64 v[143:144], v[119:120], s[6:7], v[84:85]
	;; [unrolled: 1-line block ×8, first 2 shown]
	v_add_f64 v[74:75], v[40:41], -v[52:53]
	v_add_f64 v[125:126], v[48:49], -v[52:53]
	v_add_f64 v[127:128], v[52:53], -v[48:49]
	v_add_f64 v[40:41], v[40:41], v[97:98]
	v_add_f64 v[32:33], v[32:33], v[121:122]
	;; [unrolled: 1-line block ×4, first 2 shown]
	v_fma_f64 v[121:122], v[109:110], s[6:7], v[86:87]
	v_fma_f64 v[86:87], v[109:110], s[0:1], v[86:87]
	;; [unrolled: 1-line block ×4, first 2 shown]
	s_waitcnt vmcnt(7)
	v_add_f64 v[147:148], v[4:5], v[64:65]
	v_add_f64 v[101:102], v[54:55], v[42:43]
	v_add_f64 v[103:104], v[78:79], v[50:51]
	v_fma_f64 v[107:108], v[119:120], s[4:5], v[107:108]
	v_fma_f64 v[141:142], v[117:118], s[4:5], v[143:144]
	;; [unrolled: 1-line block ×8, first 2 shown]
	v_add_f64 v[80:81], v[78:79], -v[42:43]
	v_add_f64 v[78:79], v[42:43], -v[78:79]
	v_add_f64 v[149:150], v[6:7], v[66:67]
	v_add_f64 v[42:43], v[42:43], v[99:100]
	;; [unrolled: 1-line block ×7, first 2 shown]
	v_fma_f64 v[52:53], v[115:116], s[8:9], v[121:122]
	v_fma_f64 v[56:57], v[115:116], s[4:5], v[86:87]
	;; [unrolled: 1-line block ×4, first 2 shown]
	s_waitcnt vmcnt(3)
	v_add_f64 v[117:118], v[60:61], v[36:37]
	v_fma_f64 v[107:108], v[95:96], s[14:15], v[107:108]
	v_fma_f64 v[133:134], v[70:71], s[14:15], v[141:142]
	v_fma_f64 v[70:71], v[70:71], s[14:15], v[84:85]
	v_fma_f64 v[82:83], v[95:96], s[14:15], v[82:83]
	v_fma_f64 v[109:110], v[97:98], s[14:15], v[131:132]
	v_fma_f64 v[97:98], v[97:98], s[14:15], v[105:106]
	v_fma_f64 v[115:116], v[68:69], s[14:15], v[137:138]
	v_fma_f64 v[68:69], v[68:69], s[14:15], v[72:73]
	v_add_f64 v[153:154], v[64:65], -v[60:61]
	v_add_f64 v[155:156], v[60:61], -v[64:65]
	;; [unrolled: 1-line block ×3, first 2 shown]
	v_add_f64 v[60:61], v[60:61], v[147:148]
	s_mov_b32 s20, 0x9b97f4a8
	s_mov_b32 s21, 0x3fe9e377
	;; [unrolled: 1-line block ×6, first 2 shown]
	v_add_f64 v[76:77], v[76:77], -v[48:49]
	v_add_f64 v[151:152], v[50:51], -v[54:55]
	;; [unrolled: 1-line block ×4, first 2 shown]
	v_mul_f64 v[105:106], v[107:108], s[8:9]
	v_mul_f64 v[121:122], v[133:134], s[6:7]
	;; [unrolled: 1-line block ×4, first 2 shown]
	v_add_f64 v[135:136], v[62:63], v[38:39]
	v_add_f64 v[84:85], v[66:67], -v[62:63]
	v_add_f64 v[95:96], v[62:63], -v[66:67]
	v_add_f64 v[62:63], v[62:63], v[149:150]
	v_add_f64 v[42:43], v[54:55], v[42:43]
	;; [unrolled: 1-line block ×5, first 2 shown]
	v_fma_f64 v[44:45], v[111:112], s[14:15], v[52:53]
	v_fma_f64 v[52:53], v[111:112], s[14:15], v[56:57]
	;; [unrolled: 1-line block ×4, first 2 shown]
	s_waitcnt vmcnt(2)
	v_add_f64 v[113:114], v[14:15], v[22:23]
	s_waitcnt vmcnt(0)
	v_add_f64 v[127:128], v[18:19], v[10:11]
	v_add_f64 v[125:126], v[12:13], v[20:21]
	v_add_f64 v[111:112], v[36:37], -v[24:25]
	v_add_f64 v[129:130], v[16:17], v[8:9]
	v_add_f64 v[141:142], v[24:25], v[64:65]
	v_fma_f64 v[48:49], v[109:110], s[20:21], v[105:106]
	v_fma_f64 v[56:57], v[115:116], s[14:15], v[121:122]
	;; [unrolled: 1-line block ×4, first 2 shown]
	v_add_f64 v[105:106], v[24:25], -v[36:37]
	v_add_f64 v[36:37], v[36:37], v[60:61]
	v_add_f64 v[121:122], v[16:17], v[28:29]
	;; [unrolled: 1-line block ×3, first 2 shown]
	v_fma_f64 v[101:102], v[101:102], -0.5, v[2:3]
	v_fma_f64 v[103:104], v[103:104], -0.5, v[2:3]
	v_add_f64 v[60:61], v[38:39], v[62:63]
	v_add_f64 v[62:63], v[50:51], v[42:43]
	;; [unrolled: 1-line block ×4, first 2 shown]
	v_add_f64 v[34:35], v[40:41], -v[32:33]
	v_add_f64 v[64:65], v[64:65], -v[24:25]
	v_add_f64 v[99:100], v[66:67], -v[26:27]
	v_add_f64 v[66:67], v[26:27], v[66:67]
	v_add_f64 v[137:138], v[10:11], -v[14:15]
	v_add_f64 v[147:148], v[12:13], -v[8:9]
	v_add_f64 v[80:81], v[151:152], v[80:81]
	v_mul_f64 v[70:71], v[70:71], s[16:17]
	v_add_f64 v[2:3], v[44:45], v[48:49]
	v_add_f64 v[40:41], v[44:45], -v[48:49]
	v_add_f64 v[42:43], v[54:55], -v[56:57]
	v_add_f64 v[44:45], v[54:55], v[56:57]
	v_add_f64 v[46:47], v[58:59], v[72:73]
	;; [unrolled: 1-line block ×3, first 2 shown]
	v_add_f64 v[48:49], v[58:59], -v[72:73]
	v_add_f64 v[50:51], v[52:53], -v[86:87]
	v_fma_f64 v[52:53], v[113:114], -0.5, v[30:31]
	v_add_f64 v[54:55], v[16:17], -v[8:9]
	v_fma_f64 v[30:31], v[127:128], -0.5, v[30:31]
	;; [unrolled: 2-line block ×3, first 2 shown]
	v_add_f64 v[86:87], v[18:19], -v[10:11]
	v_add_f64 v[113:114], v[24:25], v[36:37]
	v_add_f64 v[24:25], v[22:23], -v[14:15]
	v_fma_f64 v[28:29], v[129:130], -0.5, v[28:29]
	v_add_f64 v[56:57], v[26:27], -v[38:39]
	v_add_f64 v[38:39], v[38:39], -v[26:27]
	v_add_f64 v[36:37], v[20:21], v[121:122]
	v_add_f64 v[121:122], v[22:23], v[123:124]
	;; [unrolled: 1-line block ×3, first 2 shown]
	v_fma_f64 v[26:27], v[117:118], -0.5, v[4:5]
	v_fma_f64 v[4:5], v[141:142], -0.5, v[4:5]
	v_fma_f64 v[60:61], v[76:77], s[0:1], v[101:102]
	v_fma_f64 v[101:102], v[76:77], s[6:7], v[101:102]
	v_add_f64 v[117:118], v[16:17], -v[20:21]
	v_add_f64 v[125:126], v[18:19], -v[22:23]
	v_fma_f64 v[127:128], v[74:75], s[6:7], v[103:104]
	v_add_f64 v[129:130], v[8:9], -v[12:13]
	v_add_f64 v[16:17], v[20:21], -v[16:17]
	;; [unrolled: 3-line block ×3, first 2 shown]
	v_fma_f64 v[22:23], v[58:59], s[6:7], v[30:31]
	v_fma_f64 v[30:31], v[58:59], s[0:1], v[30:31]
	;; [unrolled: 1-line block ×7, first 2 shown]
	v_add_f64 v[12:13], v[12:13], v[36:37]
	v_add_f64 v[14:15], v[14:15], v[121:122]
	v_fma_f64 v[36:37], v[135:136], -0.5, v[6:7]
	v_fma_f64 v[6:7], v[66:67], -0.5, v[6:7]
	v_add_f64 v[66:67], v[143:144], v[78:79]
	v_fma_f64 v[60:61], v[74:75], s[4:5], v[60:61]
	v_fma_f64 v[74:75], v[74:75], s[8:9], v[101:102]
	;; [unrolled: 1-line block ×3, first 2 shown]
	v_mul_f64 v[82:83], v[82:83], s[18:19]
	v_fma_f64 v[78:79], v[76:77], s[4:5], v[127:128]
	v_add_f64 v[101:102], v[129:130], v[117:118]
	v_add_f64 v[117:118], v[137:138], v[125:126]
	v_fma_f64 v[121:122], v[58:59], s[4:5], v[141:142]
	v_add_f64 v[16:17], v[147:148], v[16:17]
	v_add_f64 v[18:19], v[20:21], v[18:19]
	v_fma_f64 v[20:21], v[54:55], s[4:5], v[22:23]
	v_fma_f64 v[22:23], v[54:55], s[8:9], v[30:31]
	;; [unrolled: 1-line block ×5, first 2 shown]
	v_add_f64 v[38:39], v[38:39], v[95:96]
	v_fma_f64 v[24:25], v[24:25], s[4:5], v[72:73]
	v_add_f64 v[12:13], v[8:9], v[12:13]
	v_add_f64 v[125:126], v[10:11], v[14:15]
	v_fma_f64 v[8:9], v[99:100], s[6:7], v[26:27]
	v_fma_f64 v[14:15], v[99:100], s[0:1], v[26:27]
	;; [unrolled: 1-line block ×18, first 2 shown]
	v_add_f64 v[80:81], v[105:106], v[153:154]
	v_add_f64 v[103:104], v[111:112], v[155:156]
	v_fma_f64 v[36:37], v[64:65], s[6:7], v[36:37]
	v_mul_f64 v[52:53], v[115:116], s[0:1]
	v_fma_f64 v[8:9], v[119:120], s[8:9], v[8:9]
	v_fma_f64 v[14:15], v[119:120], s[4:5], v[14:15]
	;; [unrolled: 1-line block ×3, first 2 shown]
	v_mul_f64 v[76:77], v[107:108], s[20:21]
	v_add_f64 v[56:57], v[56:57], v[84:85]
	v_fma_f64 v[16:17], v[16:17], s[14:15], v[28:29]
	v_fma_f64 v[4:5], v[99:100], s[4:5], v[4:5]
	;; [unrolled: 1-line block ×6, first 2 shown]
	v_mul_f64 v[24:25], v[72:73], s[8:9]
	v_fma_f64 v[10:11], v[66:67], s[14:15], v[10:11]
	v_mul_f64 v[28:29], v[20:21], s[6:7]
	v_mul_f64 v[95:96], v[18:19], s[6:7]
	;; [unrolled: 1-line block ×5, first 2 shown]
	v_fma_f64 v[84:85], v[139:140], s[4:5], v[86:87]
	v_mul_f64 v[18:19], v[18:19], s[16:17]
	v_fma_f64 v[70:71], v[97:98], s[4:5], v[82:83]
	v_fma_f64 v[52:53], v[133:134], s[14:15], v[52:53]
	;; [unrolled: 1-line block ×7, first 2 shown]
	v_mul_f64 v[14:15], v[30:31], s[18:19]
	v_fma_f64 v[97:98], v[103:104], s[14:15], v[4:5]
	v_add_f64 v[4:5], v[113:114], v[12:13]
	v_fma_f64 v[78:79], v[38:39], s[14:15], v[78:79]
	v_fma_f64 v[103:104], v[38:39], s[14:15], v[6:7]
	s_load_dwordx2 s[2:3], s[2:3], 0x0
	v_fma_f64 v[22:23], v[22:23], s[20:21], v[24:25]
	v_add_f64 v[38:39], v[10:11], v[68:69]
	v_fma_f64 v[105:106], v[54:55], s[14:15], v[28:29]
	v_fma_f64 v[95:96], v[16:17], s[16:17], v[95:96]
	;; [unrolled: 1-line block ×7, first 2 shown]
	v_add_f64 v[24:25], v[131:132], v[62:63]
	v_add_f64 v[30:31], v[74:75], -v[52:53]
	v_add_f64 v[36:37], v[74:75], v[52:53]
	v_add_f64 v[54:55], v[62:63], -v[131:132]
	v_add_f64 v[52:53], v[60:61], v[70:71]
	v_fma_f64 v[74:75], v[56:57], s[14:15], v[8:9]
	v_add_f64 v[56:57], v[10:11], -v[68:69]
	v_add_f64 v[26:27], v[58:59], v[76:77]
	v_add_f64 v[28:29], v[58:59], -v[76:77]
	v_fma_f64 v[76:77], v[64:65], s[4:5], v[14:15]
	v_add_f64 v[14:15], v[113:114], -v[12:13]
	v_lshl_add_u32 v130, v94, 3, 0
	v_add_f64 v[58:59], v[60:61], -v[70:71]
	v_add_f64 v[16:17], v[82:83], -v[22:23]
	v_add_f64 v[6:7], v[82:83], v[22:23]
	v_add_f64 v[18:19], v[86:87], -v[105:106]
	v_add_f64 v[20:21], v[97:98], -v[95:96]
	v_add_f64 v[8:9], v[86:87], v[105:106]
	v_add_f64 v[22:23], v[80:81], -v[99:100]
	v_add_f64 v[10:11], v[97:98], v[95:96]
	v_add_f64 v[12:13], v[80:81], v[99:100]
	v_mul_u32_u24_e32 v80, 10, v90
	v_add_f64 v[62:63], v[66:67], v[72:73]
	v_add_f64 v[64:65], v[66:67], -v[72:73]
	v_add_nc_u32_e32 v96, 0xa0, v90
	v_add_f64 v[68:69], v[78:79], v[101:102]
	v_lshl_add_u32 v72, v80, 3, 0
	ds_write_b128 v72, v[0:3]
	ds_write_b128 v72, v[44:47] offset:16
	ds_write_b128 v72, v[32:35] offset:32
	;; [unrolled: 1-line block ×9, first 2 shown]
	v_and_b32_e32 v20, 0xff, v90
	v_mov_b32_e32 v32, 0xcccd
	v_mad_i32_i24 v127, 0xffffffb8, v90, v72
	v_add_f64 v[70:71], v[103:104], v[107:108]
	v_add_f64 v[82:83], v[103:104], -v[107:108]
	v_mul_lo_u16 v33, 0xcd, v20
	v_mul_u32_u24_sdwa v32, v96, v32 dst_sel:DWORD dst_unused:UNUSED_PAD src0_sel:WORD_0 src1_sel:DWORD
	v_add_nc_u32_e32 v111, 0x2c00, v127
	v_add_nc_u32_e32 v129, 0x4000, v127
	;; [unrolled: 1-line block ×3, first 2 shown]
	v_lshrrev_b16 v135, 11, v33
	v_lshrrev_b32_e32 v95, 19, v32
	v_add_nc_u32_e32 v128, 0x3600, v127
	v_add_nc_u32_e32 v131, 0x4a00, v127
	v_add_f64 v[84:85], v[74:75], -v[76:77]
	v_add_nc_u32_e32 v105, 0x1400, v127
	v_add_nc_u32_e32 v132, 0x5400, v127
	v_add_f64 v[66:67], v[78:79], -v[101:102]
	v_add_f64 v[80:81], v[123:124], -v[125:126]
	v_add_f64 v[78:79], v[74:75], v[76:77]
	v_add_nc_u32_e32 v91, 0x1c00, v127
	v_add_f64 v[60:61], v[123:124], v[125:126]
	v_mul_lo_u16 v32, v135, 10
	s_waitcnt lgkmcnt(0)
	s_barrier
	buffer_gl0_inv
	ds_read2_b64 v[0:3], v127 offset1:160
	ds_read2_b64 v[97:100], v73 offset0:64 offset1:224
	ds_read2_b64 v[115:118], v105 offset1:160
	ds_read2_b64 v[74:77], v91 offset0:64 offset1:224
	ds_read2_b64 v[8:11], v111 offset0:32 offset1:192
	;; [unrolled: 1-line block ×5, first 2 shown]
	ds_read_b64 v[109:110], v130
	ds_read_b64 v[107:108], v127 offset:24320
	ds_read2_b64 v[20:23], v132 offset0:32 offset1:192
	s_waitcnt lgkmcnt(0)
	s_barrier
	buffer_gl0_inv
	ds_write_b128 v72, v[24:27]
	ds_write_b128 v72, v[36:39] offset:16
	ds_write_b128 v72, v[52:55] offset:32
	v_mul_lo_u16 v24, v95, 10
	v_sub_nc_u16 v134, v90, v32
	v_mov_b32_e32 v25, 9
	ds_write_b128 v72, v[28:31] offset:48
	ds_write_b128 v72, v[56:59] offset:64
	;; [unrolled: 1-line block ×3, first 2 shown]
	v_sub_nc_u16 v133, v96, v24
	v_mul_u32_u24_sdwa v24, v134, v25 dst_sel:DWORD dst_unused:UNUSED_PAD src0_sel:BYTE_0 src1_sel:DWORD
	ds_write_b128 v72, v[68:71] offset:12816
	ds_write_b128 v72, v[78:81] offset:12832
	;; [unrolled: 1-line block ×4, first 2 shown]
	s_waitcnt lgkmcnt(0)
	v_mul_u32_u24_sdwa v25, v133, v25 dst_sel:DWORD dst_unused:UNUSED_PAD src0_sel:WORD_0 src1_sel:DWORD
	v_lshlrev_b32_e32 v52, 4, v24
	s_barrier
	buffer_gl0_inv
	v_mul_u32_u24_e32 v95, 0x320, v95
	v_lshlrev_b32_e32 v53, 4, v25
	s_clause 0x11
	global_load_dwordx4 v[68:71], v52, s[12:13]
	global_load_dwordx4 v[78:81], v53, s[12:13]
	global_load_dwordx4 v[84:87], v52, s[12:13] offset:16
	global_load_dwordx4 v[121:124], v53, s[12:13] offset:16
	;; [unrolled: 1-line block ×16, first 2 shown]
	ds_read2_b64 v[101:104], v73 offset0:64 offset1:224
	ds_read2_b64 v[148:151], v105 offset1:160
	ds_read2_b64 v[152:155], v91 offset0:64 offset1:224
	s_waitcnt vmcnt(17) lgkmcnt(2)
	v_mul_f64 v[72:73], v[101:102], v[70:71]
	v_mul_f64 v[70:71], v[97:98], v[70:71]
	s_waitcnt vmcnt(16)
	v_mul_f64 v[105:106], v[103:104], v[80:81]
	v_mul_f64 v[125:126], v[99:100], v[80:81]
	s_waitcnt vmcnt(15) lgkmcnt(1)
	v_mul_f64 v[156:157], v[148:149], v[86:87]
	v_mul_f64 v[86:87], v[115:116], v[86:87]
	s_waitcnt vmcnt(14)
	v_mul_f64 v[158:159], v[150:151], v[123:124]
	ds_read2_b64 v[80:83], v111 offset0:32 offset1:192
	v_fma_f64 v[119:120], v[97:98], v[68:69], v[72:73]
	v_fma_f64 v[113:114], v[101:102], v[68:69], -v[70:71]
	v_fma_f64 v[111:112], v[99:100], v[78:79], v[105:106]
	v_mul_f64 v[68:69], v[117:118], v[123:124]
	s_waitcnt vmcnt(13) lgkmcnt(1)
	v_mul_f64 v[72:73], v[152:153], v[138:139]
	v_fma_f64 v[101:102], v[103:104], v[78:79], -v[125:126]
	v_mul_f64 v[78:79], v[74:75], v[138:139]
	s_waitcnt vmcnt(12)
	v_mul_f64 v[123:124], v[154:155], v[142:143]
	v_mul_f64 v[138:139], v[76:77], v[142:143]
	v_fma_f64 v[105:106], v[115:116], v[84:85], v[156:157]
	v_fma_f64 v[99:100], v[148:149], v[84:85], -v[86:87]
	ds_read2_b64 v[84:87], v128 offset0:32 offset1:192
	s_waitcnt vmcnt(11) lgkmcnt(1)
	v_mul_f64 v[142:143], v[82:83], v[146:147]
	v_fma_f64 v[103:104], v[117:118], v[121:122], v[158:159]
	v_mul_f64 v[146:147], v[10:11], v[146:147]
	s_waitcnt vmcnt(10)
	v_mul_f64 v[125:126], v[80:81], v[26:27]
	v_mul_f64 v[148:149], v[8:9], v[26:27]
	v_mov_b32_e32 v156, 0x320
	v_mul_u32_u24_sdwa v156, v135, v156 dst_sel:DWORD dst_unused:UNUSED_PAD src0_sel:WORD_0 src1_sel:DWORD
	v_mov_b32_e32 v135, 3
	v_fma_f64 v[97:98], v[150:151], v[121:122], -v[68:69]
	v_fma_f64 v[121:122], v[74:75], v[136:137], v[72:73]
	ds_read2_b64 v[68:71], v132 offset0:32 offset1:192
	v_fma_f64 v[117:118], v[152:153], v[136:137], -v[78:79]
	v_fma_f64 v[115:116], v[76:77], v[140:141], v[123:124]
	v_fma_f64 v[26:27], v[154:155], v[140:141], -v[138:139]
	s_waitcnt vmcnt(9) lgkmcnt(1)
	v_mul_f64 v[136:137], v[86:87], v[34:35]
	v_mul_f64 v[138:139], v[6:7], v[34:35]
	s_waitcnt vmcnt(8)
	v_mul_f64 v[140:141], v[84:85], v[30:31]
	ds_read2_b64 v[72:75], v129 offset0:32 offset1:192
	ds_read2_b64 v[76:79], v131 offset0:32 offset1:192
	ds_read_b64 v[123:124], v130
	v_mul_f64 v[150:151], v[4:5], v[30:31]
	v_fma_f64 v[30:31], v[10:11], v[144:145], v[142:143]
	v_fma_f64 v[10:11], v[82:83], v[144:145], -v[146:147]
	ds_read_b64 v[82:83], v127 offset:24320
	s_waitcnt vmcnt(7)
	v_mul_f64 v[142:143], v[22:23], v[50:51]
	v_fma_f64 v[34:35], v[8:9], v[24:25], v[125:126]
	s_waitcnt vmcnt(6)
	v_mul_f64 v[125:126], v[18:19], v[46:47]
	v_fma_f64 v[8:9], v[80:81], v[24:25], -v[148:149]
	s_waitcnt vmcnt(5)
	v_mul_f64 v[80:81], v[16:17], v[38:39]
	v_lshlrev_b32_sdwa v134, v135, v134 dst_sel:DWORD dst_unused:UNUSED_PAD src0_sel:DWORD src1_sel:BYTE_0
	s_waitcnt lgkmcnt(4)
	v_mul_f64 v[50:51], v[70:71], v[50:51]
	v_lshlrev_b32_sdwa v157, v135, v133 dst_sel:DWORD dst_unused:UNUSED_PAD src0_sel:DWORD src1_sel:WORD_0
	v_add3_u32 v156, 0, v156, v134
	v_fma_f64 v[136:137], v[6:7], v[32:33], v[136:137]
	s_waitcnt lgkmcnt(3)
	v_mul_f64 v[24:25], v[74:75], v[46:47]
	v_mul_f64 v[46:47], v[72:73], v[38:39]
	s_waitcnt vmcnt(4) lgkmcnt(2)
	v_mul_f64 v[144:145], v[78:79], v[42:43]
	v_fma_f64 v[6:7], v[86:87], v[32:33], -v[138:139]
	s_waitcnt vmcnt(3) lgkmcnt(1)
	v_mul_f64 v[32:33], v[123:124], v[58:59]
	v_fma_f64 v[86:87], v[4:5], v[28:29], v[140:141]
	s_waitcnt vmcnt(1)
	v_mul_f64 v[140:141], v[68:69], v[66:67]
	v_mul_f64 v[42:43], v[14:15], v[42:43]
	v_mul_f64 v[138:139], v[76:77], v[62:63]
	v_fma_f64 v[4:5], v[84:85], v[28:29], -v[150:151]
	v_mul_f64 v[62:63], v[12:13], v[62:63]
	v_mul_f64 v[66:67], v[20:21], v[66:67]
	;; [unrolled: 1-line block ×3, first 2 shown]
	s_waitcnt vmcnt(0) lgkmcnt(0)
	v_mul_f64 v[84:85], v[82:83], v[54:55]
	v_fma_f64 v[28:29], v[70:71], v[48:49], -v[142:143]
	v_fma_f64 v[48:49], v[22:23], v[48:49], v[50:51]
	v_mul_f64 v[22:23], v[107:108], v[54:55]
	v_fma_f64 v[38:39], v[74:75], v[44:45], -v[125:126]
	v_add_f64 v[142:143], v[2:3], v[103:104]
	v_fma_f64 v[44:45], v[18:19], v[44:45], v[24:25]
	v_fma_f64 v[24:25], v[16:17], v[36:37], v[46:47]
	;; [unrolled: 1-line block ×3, first 2 shown]
	v_fma_f64 v[14:15], v[72:73], v[36:37], -v[80:81]
	v_fma_f64 v[50:51], v[109:110], v[56:57], v[32:33]
	v_add_f64 v[80:81], v[10:11], -v[117:118]
	v_fma_f64 v[32:33], v[20:21], v[64:65], v[140:141]
	v_fma_f64 v[16:17], v[78:79], v[40:41], -v[42:43]
	v_fma_f64 v[36:37], v[12:13], v[60:61], v[138:139]
	v_add_f64 v[109:110], v[30:31], -v[121:122]
	v_fma_f64 v[12:13], v[76:77], v[60:61], -v[62:63]
	v_fma_f64 v[20:21], v[68:69], v[64:65], -v[66:67]
	v_fma_f64 v[18:19], v[123:124], v[56:57], -v[58:59]
	v_fma_f64 v[40:41], v[107:108], v[52:53], v[84:85]
	v_add_f64 v[42:43], v[117:118], v[28:29]
	v_add_f64 v[60:61], v[121:122], -v[48:49]
	v_fma_f64 v[22:23], v[82:83], v[52:53], -v[22:23]
	v_add_f64 v[46:47], v[10:11], v[38:39]
	v_add_f64 v[52:53], v[121:122], v[48:49]
	v_add_f64 v[62:63], v[121:122], -v[30:31]
	v_add_f64 v[66:67], v[117:118], -v[10:11]
	;; [unrolled: 1-line block ×3, first 2 shown]
	v_add_f64 v[56:57], v[30:31], v[44:45]
	v_add_f64 v[74:75], v[34:35], v[24:25]
	;; [unrolled: 1-line block ×3, first 2 shown]
	v_add_f64 v[82:83], v[38:39], -v[28:29]
	v_add_f64 v[70:71], v[50:51], v[136:137]
	v_add_f64 v[107:108], v[119:120], v[121:122]
	;; [unrolled: 1-line block ×3, first 2 shown]
	v_add_f64 v[121:122], v[44:45], -v[48:49]
	v_add_f64 v[123:124], v[105:106], -v[50:51]
	v_add_f64 v[125:126], v[54:55], -v[136:137]
	v_add_f64 v[58:59], v[30:31], -v[44:45]
	v_add_f64 v[64:65], v[48:49], -v[44:45]
	v_add_f64 v[84:85], v[0:1], v[105:106]
	v_add_f64 v[138:139], v[50:51], -v[105:106]
	v_add_f64 v[140:141], v[136:137], -v[54:55]
	;; [unrolled: 1-line block ×6, first 2 shown]
	v_fma_f64 v[52:53], v[52:53], -0.5, v[119:120]
	v_fma_f64 v[42:43], v[42:43], -0.5, v[113:114]
	v_add_f64 v[66:67], v[66:67], v[68:69]
	v_fma_f64 v[56:57], v[56:57], -0.5, v[119:120]
	v_add_f64 v[119:120], v[24:25], -v[32:33]
	v_add_f64 v[68:69], v[111:112], v[115:116]
	v_add_f64 v[80:81], v[80:81], v[82:83]
	v_fma_f64 v[70:71], v[70:71], -0.5, v[0:1]
	v_fma_f64 v[0:1], v[72:73], -0.5, v[0:1]
	v_fma_f64 v[72:73], v[74:75], -0.5, v[2:3]
	v_fma_f64 v[74:75], v[76:77], -0.5, v[2:3]
	v_add_f64 v[2:3], v[86:87], v[36:37]
	v_add_f64 v[76:77], v[34:35], -v[103:104]
	v_add_f64 v[82:83], v[115:116], v[40:41]
	v_add_f64 v[109:110], v[109:110], v[121:122]
	v_add_f64 v[121:122], v[26:27], v[22:23]
	v_fma_f64 v[46:47], v[46:47], -0.5, v[113:114]
	v_add_f64 v[123:124], v[123:124], v[125:126]
	v_add_f64 v[125:126], v[4:5], v[12:13]
	v_add_f64 v[78:79], v[10:11], -v[38:39]
	v_add_f64 v[148:149], v[115:116], -v[86:87]
	v_add_f64 v[150:151], v[40:41], -v[36:37]
	v_add_f64 v[62:63], v[62:63], v[64:65]
	v_add_f64 v[64:65], v[86:87], -v[115:116]
	v_add_f64 v[30:31], v[107:108], v[30:31]
	v_add_f64 v[107:108], v[36:37], -v[40:41]
	;; [unrolled: 2-line block ×5, first 2 shown]
	v_add_f64 v[84:85], v[84:85], v[50:51]
	v_add_f64 v[152:153], v[152:153], v[154:155]
	v_add_f64 v[154:155], v[18:19], -v[6:7]
	v_add_f64 v[68:69], v[68:69], v[86:87]
	v_add_f64 v[86:87], v[86:87], -v[36:37]
	v_add_f64 v[115:116], v[115:116], -v[40:41]
	v_add_f64 v[76:77], v[76:77], v[119:120]
	v_fma_f64 v[2:3], v[2:3], -0.5, v[111:112]
	v_fma_f64 v[119:120], v[58:59], s[6:7], v[42:43]
	v_fma_f64 v[42:43], v[58:59], s[0:1], v[42:43]
	v_fma_f64 v[121:122], v[121:122], -0.5, v[101:102]
	v_fma_f64 v[82:83], v[82:83], -0.5, v[111:112]
	v_fma_f64 v[111:112], v[60:61], s[0:1], v[46:47]
	v_fma_f64 v[46:47], v[60:61], s[6:7], v[46:47]
	v_fma_f64 v[125:126], v[125:126], -0.5, v[101:102]
	v_add_f64 v[148:149], v[148:149], v[150:151]
	v_add_f64 v[150:151], v[99:100], -v[16:17]
	v_add_f64 v[50:51], v[50:51], -v[136:137]
	v_add_f64 v[64:65], v[64:65], v[107:108]
	v_add_f64 v[107:108], v[140:141], v[146:147]
	v_fma_f64 v[140:141], v[78:79], s[0:1], v[52:53]
	v_fma_f64 v[52:53], v[78:79], s[6:7], v[52:53]
	v_add_f64 v[146:147], v[4:5], -v[12:13]
	v_add_f64 v[84:85], v[84:85], v[136:137]
	v_fma_f64 v[136:137], v[117:118], s[6:7], v[56:57]
	v_fma_f64 v[56:57], v[117:118], s[0:1], v[56:57]
	v_add_f64 v[30:31], v[30:31], v[44:45]
	v_fma_f64 v[44:45], v[154:155], s[0:1], v[0:1]
	v_fma_f64 v[0:1], v[154:155], s[6:7], v[0:1]
	v_add_f64 v[36:37], v[68:69], v[36:37]
	v_add_f64 v[68:69], v[26:27], -v[22:23]
	v_fma_f64 v[119:120], v[60:61], s[4:5], v[119:120]
	v_fma_f64 v[42:43], v[60:61], s[8:9], v[42:43]
	;; [unrolled: 1-line block ×8, first 2 shown]
	v_add_f64 v[142:143], v[142:143], v[34:35]
	v_add_f64 v[105:106], v[105:106], -v[54:55]
	v_add_f64 v[10:11], v[113:114], v[10:11]
	v_fma_f64 v[140:141], v[117:118], s[8:9], v[140:141]
	v_fma_f64 v[52:53], v[117:118], s[4:5], v[52:53]
	;; [unrolled: 1-line block ×15, first 2 shown]
	v_add_f64 v[121:122], v[8:9], -v[14:15]
	v_fma_f64 v[42:43], v[80:81], s[14:15], v[42:43]
	v_fma_f64 v[58:59], v[86:87], s[4:5], v[58:59]
	;; [unrolled: 1-line block ×3, first 2 shown]
	v_add_f64 v[125:126], v[97:98], -v[20:21]
	v_fma_f64 v[111:112], v[66:67], s[14:15], v[111:112]
	v_fma_f64 v[46:47], v[66:67], s[14:15], v[46:47]
	v_add_f64 v[133:134], v[142:143], v[24:25]
	v_add_f64 v[54:55], v[84:85], v[54:55]
	v_fma_f64 v[117:118], v[154:155], s[8:9], v[117:118]
	v_fma_f64 v[70:71], v[154:155], s[4:5], v[70:71]
	;; [unrolled: 1-line block ×10, first 2 shown]
	ds_read2_b64 v[0:3], v127 offset1:160
	v_fma_f64 v[60:61], v[107:108], s[14:15], v[60:61]
	v_fma_f64 v[107:108], v[107:108], s[14:15], v[115:116]
	;; [unrolled: 1-line block ×8, first 2 shown]
	v_mul_f64 v[109:110], v[111:112], s[8:9]
	v_mul_f64 v[56:57], v[46:47], s[8:9]
	;; [unrolled: 1-line block ×3, first 2 shown]
	v_add_f64 v[30:31], v[30:31], v[48:49]
	v_add_f64 v[36:37], v[36:37], v[40:41]
	;; [unrolled: 1-line block ×3, first 2 shown]
	v_fma_f64 v[117:118], v[123:124], s[14:15], v[117:118]
	v_fma_f64 v[78:79], v[64:65], s[14:15], v[78:79]
	;; [unrolled: 1-line block ×7, first 2 shown]
	s_waitcnt lgkmcnt(0)
	v_add_f64 v[86:87], v[0:1], v[99:100]
	v_mul_f64 v[64:65], v[60:61], s[6:7]
	v_mul_f64 v[146:147], v[107:108], s[6:7]
	v_fma_f64 v[80:81], v[125:126], s[8:9], v[80:81]
	v_fma_f64 v[74:75], v[125:126], s[4:5], v[74:75]
	v_mul_f64 v[125:126], v[119:120], s[6:7]
	v_mul_f64 v[148:149], v[152:153], s[8:9]
	v_fma_f64 v[66:67], v[121:122], s[8:9], v[66:67]
	v_fma_f64 v[72:73], v[121:122], s[4:5], v[72:73]
	v_mul_f64 v[121:122], v[58:59], s[8:9]
	v_fma_f64 v[109:110], v[84:85], s[20:21], v[109:110]
	v_fma_f64 v[56:57], v[62:63], s[18:19], v[56:57]
	;; [unrolled: 1-line block ×4, first 2 shown]
	v_add_f64 v[115:116], v[18:19], v[6:7]
	v_add_f64 v[10:11], v[10:11], v[38:39]
	v_mul_f64 v[38:39], v[111:112], s[20:21]
	v_add_f64 v[111:112], v[97:98], v[20:21]
	s_barrier
	buffer_gl0_inv
	v_add_f64 v[32:33], v[103:104], -v[32:33]
	v_add_f64 v[86:87], v[86:87], v[18:19]
	v_fma_f64 v[64:65], v[78:79], s[14:15], v[64:65]
	v_add_f64 v[24:25], v[34:35], -v[24:25]
	v_fma_f64 v[80:81], v[76:77], s[14:15], v[80:81]
	v_fma_f64 v[74:75], v[76:77], s[14:15], v[74:75]
	;; [unrolled: 1-line block ×8, first 2 shown]
	v_add_f64 v[144:145], v[99:100], v[16:17]
	v_add_f64 v[146:147], v[54:55], v[30:31]
	v_add_f64 v[30:31], v[54:55], -v[30:31]
	v_add_f64 v[54:55], v[40:41], v[36:37]
	v_add_f64 v[36:37], v[40:41], -v[36:37]
	;; [unrolled: 2-line block ×4, first 2 shown]
	v_add_f64 v[150:151], v[133:134], v[138:139]
	v_fma_f64 v[115:116], v[115:116], -0.5, v[0:1]
	v_add_f64 v[86:87], v[86:87], v[6:7]
	v_add_f64 v[28:29], v[10:11], v[28:29]
	;; [unrolled: 1-line block ×3, first 2 shown]
	v_add_f64 v[48:49], v[99:100], -v[18:19]
	v_add_f64 v[123:124], v[16:17], -v[6:7]
	;; [unrolled: 1-line block ×3, first 2 shown]
	v_add_f64 v[148:149], v[44:45], v[125:126]
	v_add_f64 v[44:45], v[44:45], -v[125:126]
	v_add_f64 v[125:126], v[133:134], -v[138:139]
	v_add_f64 v[70:71], v[66:67], v[121:122]
	v_add_f64 v[66:67], v[66:67], -v[121:122]
	v_add_f64 v[121:122], v[80:81], v[64:65]
	;; [unrolled: 2-line block ×4, first 2 shown]
	v_add_f64 v[133:134], v[72:73], v[140:141]
	v_add_f64 v[72:73], v[72:73], -v[140:141]
	v_fma_f64 v[0:1], v[144:145], -0.5, v[0:1]
	v_add3_u32 v139, 0, v95, v157
	ds_write2_b64 v156, v[146:147], v[40:41] offset1:10
	ds_write2_b64 v156, v[148:149], v[150:151] offset0:20 offset1:30
	ds_write2_b64 v156, v[117:118], v[30:31] offset0:40 offset1:50
	;; [unrolled: 1-line block ×4, first 2 shown]
	ds_write2_b64 v139, v[54:55], v[70:71] offset1:10
	ds_write2_b64 v139, v[121:122], v[80:81] offset0:20 offset1:30
	ds_write2_b64 v139, v[133:134], v[36:37] offset0:40 offset1:50
	;; [unrolled: 1-line block ×4, first 2 shown]
	v_add_f64 v[36:37], v[2:3], v[97:98]
	v_fma_f64 v[113:114], v[105:106], s[0:1], v[115:116]
	v_add_f64 v[34:35], v[86:87], v[16:17]
	v_add_f64 v[6:7], v[6:7], -v[16:17]
	v_fma_f64 v[44:45], v[105:106], s[6:7], v[115:116]
	v_fma_f64 v[30:31], v[76:77], -0.5, v[2:3]
	v_fma_f64 v[2:3], v[111:112], -0.5, v[2:3]
	v_add_f64 v[54:55], v[97:98], -v[8:9]
	v_fma_f64 v[16:17], v[50:51], s[6:7], v[0:1]
	v_fma_f64 v[40:41], v[50:51], s[0:1], v[0:1]
	v_add_f64 v[56:57], v[20:21], -v[14:15]
	v_add_f64 v[10:11], v[10:11], v[4:5]
	v_add_f64 v[66:67], v[14:15], -v[20:21]
	v_add_f64 v[48:49], v[48:49], v[123:124]
	v_fma_f64 v[26:27], v[84:85], s[4:5], v[38:39]
	v_mul_f64 v[84:85], v[119:120], s[14:15]
	v_mul_f64 v[46:47], v[46:47], s[18:19]
	;; [unrolled: 1-line block ×4, first 2 shown]
	v_lshrrev_b16 v70, 2, v96
	v_lshl_add_u32 v71, v90, 3, 0
	v_add_nc_u32_e32 v133, 0x3000, v127
	v_add_f64 v[36:37], v[36:37], v[8:9]
	v_add_f64 v[8:9], v[8:9], -v[97:98]
	v_fma_f64 v[113:114], v[50:51], s[4:5], v[113:114]
	v_add_f64 v[18:19], v[18:19], v[6:7]
	v_mul_f64 v[97:98], v[42:43], s[16:17]
	v_fma_f64 v[64:65], v[32:33], s[0:1], v[30:31]
	v_fma_f64 v[74:75], v[24:25], s[6:7], v[2:3]
	;; [unrolled: 1-line block ×7, first 2 shown]
	v_add_f64 v[50:51], v[54:55], v[56:57]
	v_add_f64 v[99:100], v[10:11], v[12:13]
	v_add_nc_u32_e32 v87, 0x100, v71
	v_fma_f64 v[84:85], v[136:137], s[0:1], v[84:85]
	v_fma_f64 v[46:47], v[62:63], s[4:5], v[46:47]
	;; [unrolled: 1-line block ×4, first 2 shown]
	v_add_nc_u32_e32 v134, 0x5000, v127
	v_add_nc_u32_e32 v126, 0x2800, v127
	;; [unrolled: 1-line block ×3, first 2 shown]
	v_add_f64 v[36:37], v[36:37], v[14:15]
	v_add_f64 v[66:67], v[8:9], v[66:67]
	v_fma_f64 v[38:39], v[48:49], s[14:15], v[113:114]
	v_add_nc_u32_e32 v125, 0x5800, v127
	v_fma_f64 v[52:53], v[52:53], s[0:1], v[97:98]
	v_fma_f64 v[54:55], v[24:25], s[4:5], v[64:65]
	;; [unrolled: 1-line block ×4, first 2 shown]
	v_mul_f64 v[76:77], v[107:108], s[16:17]
	v_fma_f64 v[24:25], v[24:25], s[8:9], v[30:31]
	v_mul_f64 v[30:31], v[152:153], s[18:19]
	v_fma_f64 v[107:108], v[18:19], s[14:15], v[16:17]
	v_fma_f64 v[80:81], v[18:19], s[14:15], v[80:81]
	;; [unrolled: 1-line block ×3, first 2 shown]
	v_add_f64 v[48:49], v[99:100], v[22:23]
	v_add_nc_u32_e32 v95, 0x3c00, v127
	s_waitcnt lgkmcnt(0)
	s_barrier
	buffer_gl0_inv
	ds_read2_b64 v[0:3], v127 offset1:160
	ds_read2st64_b64 v[4:7], v87 offset0:7 offset1:12
	ds_read2_b64 v[40:43], v133 offset0:64 offset1:224
	ds_read2_b64 v[12:15], v73 offset0:64 offset1:224
	;; [unrolled: 1-line block ×3, first 2 shown]
	v_add_f64 v[36:37], v[36:37], v[20:21]
	ds_read2_b64 v[62:65], v134 offset1:160
	ds_read2st64_b64 v[8:11], v127 offset0:5 offset1:10
	ds_read2_b64 v[16:19], v95 offset1:160
	ds_read2_b64 v[103:106], v126 offset1:160
	ds_read2_b64 v[20:23], v125 offset0:64 offset1:224
	s_waitcnt lgkmcnt(0)
	s_barrier
	v_fma_f64 v[54:55], v[50:51], s[14:15], v[54:55]
	v_fma_f64 v[74:75], v[66:67], s[14:15], v[74:75]
	;; [unrolled: 1-line block ×6, first 2 shown]
	v_add_f64 v[50:51], v[34:35], v[28:29]
	v_add_f64 v[68:69], v[38:39], v[26:27]
	;; [unrolled: 1-line block ×4, first 2 shown]
	v_add_f64 v[28:29], v[34:35], -v[28:29]
	v_add_f64 v[34:35], v[44:45], v[46:47]
	v_add_f64 v[26:27], v[38:39], -v[26:27]
	v_add_f64 v[38:39], v[107:108], -v[84:85]
	v_add_f64 v[52:53], v[80:81], -v[52:53]
	v_add_f64 v[44:45], v[44:45], -v[46:47]
	v_mov_b32_e32 v85, 0x147b
	v_add_f64 v[46:47], v[36:37], v[48:49]
	v_add_f64 v[36:37], v[36:37], -v[48:49]
	v_cmp_gt_u32_e64 s0, 0x64, v90
	buffer_gl0_inv
	v_add_nc_u32_e32 v72, 0x1e0, v90
	v_add_f64 v[48:49], v[54:55], v[82:83]
	v_add_f64 v[80:81], v[74:75], v[60:61]
	v_add_f64 v[60:61], v[74:75], -v[60:61]
	v_add_f64 v[74:75], v[32:33], v[66:67]
	v_add_f64 v[32:33], v[32:33], -v[66:67]
	;; [unrolled: 2-line block ×3, first 2 shown]
	v_add_f64 v[24:25], v[24:25], -v[30:31]
	v_add_nc_u32_e32 v30, 0xffffff9c, v90
	v_mul_u32_u24_sdwa v31, v70, v85 dst_sel:DWORD dst_unused:UNUSED_PAD src0_sel:WORD_0 src1_sel:DWORD
	ds_write2_b64 v156, v[50:51], v[68:69] offset1:10
	ds_write2_b64 v156, v[76:77], v[78:79] offset0:20 offset1:30
	ds_write2_b64 v156, v[34:35], v[28:29] offset0:40 offset1:50
	;; [unrolled: 1-line block ×3, first 2 shown]
	v_cndmask_b32_e64 v138, v30, v90, s0
	v_lshrrev_b32_e32 v136, 17, v31
	v_mov_b32_e32 v69, 0
	v_add_nc_u32_e32 v70, 0x140, v90
	ds_write2_b64 v156, v[52:53], v[44:45] offset0:80 offset1:90
	ds_write2_b64 v139, v[46:47], v[48:49] offset1:10
	ds_write2_b64 v139, v[80:81], v[74:75] offset0:20 offset1:30
	v_mul_i32_i24_e32 v68, 3, v138
	v_mul_lo_u16 v28, 0x64, v136
	ds_write2_b64 v139, v[66:67], v[36:37] offset0:40 offset1:50
	ds_write2_b64 v139, v[54:55], v[60:61] offset0:60 offset1:70
	;; [unrolled: 1-line block ×3, first 2 shown]
	v_lshrrev_b16 v25, 2, v70
	v_lshlrev_b64 v[26:27], 4, v[68:69]
	v_sub_nc_u16 v137, v96, v28
	s_waitcnt lgkmcnt(0)
	s_barrier
	v_mul_u32_u24_sdwa v25, v25, v85 dst_sel:DWORD dst_unused:UNUSED_PAD src0_sel:WORD_0 src1_sel:DWORD
	buffer_gl0_inv
	v_mul_u32_u24_sdwa v24, v137, v135 dst_sel:DWORD dst_unused:UNUSED_PAD src0_sel:WORD_0 src1_sel:DWORD
	v_add_co_u32 v44, s0, s12, v26
	v_add_co_ci_u32_e64 v45, s0, s13, v27, s0
	v_lshlrev_b32_e32 v24, 4, v24
	v_lshrrev_b32_e32 v140, 17, v25
	v_lshrrev_b16 v26, 2, v72
	global_load_dwordx4 v[75:78], v[44:45], off offset:1456
	v_add_nc_u32_e32 v74, 0x280, v90
	global_load_dwordx4 v[81:84], v24, s[12:13] offset:1456
	v_mul_lo_u16 v25, 0x64, v140
	v_mul_u32_u24_sdwa v26, v26, v85 dst_sel:DWORD dst_unused:UNUSED_PAD src0_sel:WORD_0 src1_sel:DWORD
	v_cmp_lt_u32_e64 s0, 0x63, v90
	v_lshrrev_b16 v27, 2, v74
	v_mul_u32_u24_e32 v68, 3, v90
	v_sub_nc_u16 v139, v70, v25
	v_lshrrev_b32_e32 v142, 17, v26
	v_mul_u32_u24_sdwa v26, v27, v85 dst_sel:DWORD dst_unused:UNUSED_PAD src0_sel:WORD_0 src1_sel:DWORD
	v_mul_u32_u24_sdwa v25, v139, v135 dst_sel:DWORD dst_unused:UNUSED_PAD src0_sel:WORD_0 src1_sel:DWORD
	v_lshrrev_b32_e32 v143, 17, v26
	v_lshlrev_b32_e32 v25, 4, v25
	s_clause 0x3
	global_load_dwordx4 v[107:110], v24, s[12:13] offset:1440
	global_load_dwordx4 v[111:114], v25, s[12:13] offset:1440
	;; [unrolled: 1-line block ×4, first 2 shown]
	v_mul_lo_u16 v24, 0x64, v142
	v_sub_nc_u16 v141, v72, v24
	v_mul_lo_u16 v24, 0x64, v143
	v_mul_u32_u24_sdwa v26, v141, v135 dst_sel:DWORD dst_unused:UNUSED_PAD src0_sel:WORD_0 src1_sel:DWORD
	v_sub_nc_u16 v144, v74, v24
	v_lshlrev_b32_e32 v28, 4, v26
	v_mul_u32_u24_sdwa v24, v144, v135 dst_sel:DWORD dst_unused:UNUSED_PAD src0_sel:WORD_0 src1_sel:DWORD
	global_load_dwordx4 v[145:148], v28, s[12:13] offset:1440
	v_lshlrev_b32_e32 v32, 4, v24
	s_clause 0x7
	global_load_dwordx4 v[149:152], v32, s[12:13] offset:1440
	global_load_dwordx4 v[48:51], v28, s[12:13] offset:1472
	global_load_dwordx4 v[52:55], v[44:45], off offset:1472
	global_load_dwordx4 v[24:27], v25, s[12:13] offset:1456
	global_load_dwordx4 v[28:31], v28, s[12:13] offset:1456
	;; [unrolled: 1-line block ×4, first 2 shown]
	global_load_dwordx4 v[44:47], v[44:45], off offset:1440
	ds_read2_b64 v[99:102], v133 offset0:64 offset1:224
	ds_read2_b64 v[153:156], v91 offset0:64 offset1:224
	ds_read2_b64 v[157:160], v126 offset1:160
	s_waitcnt vmcnt(14) lgkmcnt(2)
	v_mul_f64 v[60:61], v[99:100], v[77:78]
	v_mul_f64 v[66:67], v[40:41], v[77:78]
	s_waitcnt vmcnt(13)
	v_mul_f64 v[77:78], v[101:102], v[83:84]
	v_mul_f64 v[83:84], v[42:43], v[83:84]
	v_fma_f64 v[97:98], v[40:41], v[75:76], v[60:61]
	v_fma_f64 v[79:80], v[99:100], v[75:76], -v[66:67]
	s_waitcnt vmcnt(12) lgkmcnt(1)
	v_mul_f64 v[60:61], v[153:154], v[109:110]
	v_mul_f64 v[66:67], v[56:57], v[109:110]
	v_fma_f64 v[99:100], v[42:43], v[81:82], v[77:78]
	ds_read2_b64 v[40:43], v134 offset1:160
	v_fma_f64 v[83:84], v[101:102], v[81:82], -v[83:84]
	s_waitcnt vmcnt(11)
	v_mul_f64 v[77:78], v[155:156], v[113:114]
	v_mul_f64 v[101:102], v[58:59], v[113:114]
	s_waitcnt vmcnt(9)
	v_mul_f64 v[113:114], v[64:65], v[121:122]
	s_waitcnt vmcnt(6)
	v_mul_f64 v[123:124], v[20:21], v[50:51]
	v_fma_f64 v[81:82], v[56:57], v[107:108], v[60:61]
	v_fma_f64 v[75:76], v[153:154], v[107:108], -v[66:67]
	s_waitcnt lgkmcnt(0)
	v_mul_f64 v[60:61], v[40:41], v[117:118]
	v_mul_f64 v[66:67], v[62:63], v[117:118]
	;; [unrolled: 1-line block ×3, first 2 shown]
	v_fma_f64 v[85:86], v[58:59], v[111:112], v[77:78]
	v_fma_f64 v[77:78], v[155:156], v[111:112], -v[101:102]
	ds_read2_b64 v[56:59], v125 offset0:64 offset1:224
	v_mul_f64 v[117:118], v[157:158], v[147:148]
	v_mul_f64 v[147:148], v[103:104], v[147:148]
	v_fma_f64 v[107:108], v[62:63], v[115:116], v[60:61]
	v_fma_f64 v[101:102], v[40:41], v[115:116], -v[66:67]
	ds_read2_b64 v[60:63], v73 offset0:64 offset1:224
	v_mul_f64 v[40:41], v[159:160], v[151:152]
	v_fma_f64 v[111:112], v[64:65], v[119:120], v[109:110]
	ds_read2_b64 v[64:67], v95 offset1:160
	v_fma_f64 v[109:110], v[42:43], v[119:120], -v[113:114]
	s_waitcnt lgkmcnt(2)
	v_mul_f64 v[121:122], v[56:57], v[50:51]
	v_mul_f64 v[151:152], v[105:106], v[151:152]
	v_fma_f64 v[103:104], v[103:104], v[145:146], v[117:118]
	s_waitcnt vmcnt(5)
	v_mul_f64 v[115:116], v[14:15], v[54:55]
	v_fma_f64 v[50:51], v[157:158], v[145:146], -v[147:148]
	s_waitcnt vmcnt(2)
	v_mul_f64 v[145:146], v[58:59], v[38:39]
	v_cndmask_b32_e64 v147, 0, 0xc80, s0
	v_add_nc_u32_e32 v148, 0xffffffb0, v90
	v_cmp_gt_u32_e64 s0, 0x50, v90
	s_waitcnt lgkmcnt(1)
	v_mul_f64 v[113:114], v[62:63], v[54:55]
	v_fma_f64 v[105:106], v[105:106], v[149:150], v[40:41]
	ds_read2st64_b64 v[40:43], v87 offset0:7 offset1:12
	s_waitcnt lgkmcnt(1)
	v_mul_f64 v[117:118], v[64:65], v[26:27]
	v_mul_f64 v[119:120], v[66:67], v[30:31]
	v_fma_f64 v[121:122], v[20:21], v[48:49], v[121:122]
	v_fma_f64 v[48:49], v[56:57], v[48:49], -v[123:124]
	s_waitcnt vmcnt(1)
	v_mul_f64 v[56:57], v[60:61], v[34:35]
	v_mul_f64 v[26:27], v[16:17], v[26:27]
	;; [unrolled: 1-line block ×4, first 2 shown]
	v_lshlrev_b32_e32 v21, 3, v138
	v_fma_f64 v[54:55], v[159:160], v[149:150], -v[151:152]
	v_cndmask_b32_e64 v20, v148, v70, s0
	v_lshlrev_b32_e32 v149, 4, v68
	v_add3_u32 v147, 0, v147, v21
	v_mul_i32_i24_e32 v68, 3, v20
	v_add_co_u32 v138, s0, s12, v149
	v_fma_f64 v[113:114], v[14:15], v[52:53], v[113:114]
	s_waitcnt vmcnt(0) lgkmcnt(0)
	v_mul_f64 v[14:15], v[42:43], v[46:47]
	v_mul_f64 v[46:47], v[6:7], v[46:47]
	v_fma_f64 v[52:53], v[62:63], v[52:53], -v[115:116]
	v_fma_f64 v[62:63], v[16:17], v[24:25], v[117:118]
	v_mul_f64 v[16:17], v[22:23], v[38:39]
	v_fma_f64 v[117:118], v[22:23], v[36:37], v[145:146]
	v_fma_f64 v[115:116], v[18:19], v[28:29], v[119:120]
	;; [unrolled: 1-line block ×3, first 2 shown]
	v_mul_u32_u24_e32 v12, 0xc80, v136
	v_mul_u32_u24_e32 v13, 0xc80, v140
	v_fma_f64 v[23:24], v[64:65], v[24:25], -v[26:27]
	v_fma_f64 v[25:26], v[66:67], v[28:29], -v[30:31]
	;; [unrolled: 1-line block ×3, first 2 shown]
	v_add_f64 v[31:32], v[0:1], -v[97:98]
	v_add_f64 v[33:34], v[2:3], -v[99:100]
	;; [unrolled: 1-line block ×5, first 2 shown]
	v_add_nc_u32_e32 v145, 0x400, v147
	v_add_co_ci_u32_e64 v148, null, s13, 0, s0
	v_add_co_u32 v119, s0, 0x1860, v138
	v_fma_f64 v[6:7], v[6:7], v[44:45], v[14:15]
	v_lshlrev_b32_sdwa v14, v135, v137 dst_sel:DWORD dst_unused:UNUSED_PAD src0_sel:DWORD src1_sel:WORD_0
	v_lshlrev_b32_sdwa v15, v135, v139 dst_sel:DWORD dst_unused:UNUSED_PAD src0_sel:DWORD src1_sel:WORD_0
	v_fma_f64 v[38:39], v[42:43], v[44:45], -v[46:47]
	v_fma_f64 v[36:37], v[58:59], v[36:37], -v[16:17]
	v_add_f64 v[42:43], v[81:82], -v[107:108]
	v_add3_u32 v136, 0, v12, v14
	v_add3_u32 v137, 0, v13, v15
	ds_read2_b64 v[12:15], v127 offset1:160
	ds_read2st64_b64 v[16:19], v127 offset0:5 offset1:10
	v_add_f64 v[60:61], v[8:9], -v[62:63]
	v_add_f64 v[62:63], v[4:5], -v[115:116]
	v_mul_u32_u24_e32 v47, 0xc80, v143
	v_lshlrev_b64 v[45:46], 4, v[68:69]
	v_lshlrev_b32_sdwa v68, v135, v141 dst_sel:DWORD dst_unused:UNUSED_PAD src0_sel:DWORD src1_sel:WORD_0
	v_lshlrev_b32_sdwa v135, v135, v144 dst_sel:DWORD dst_unused:UNUSED_PAD src0_sel:DWORD src1_sel:WORD_0
	v_add_f64 v[66:67], v[105:106], -v[117:118]
	v_add_f64 v[58:59], v[85:86], -v[111:112]
	;; [unrolled: 1-line block ×4, first 2 shown]
	v_add3_u32 v117, 0, v47, v135
	v_add_f64 v[47:48], v[50:51], -v[48:49]
	v_fma_f64 v[0:1], v[0:1], 2.0, -v[31:32]
	v_add_f64 v[29:30], v[6:7], -v[113:114]
	v_fma_f64 v[2:3], v[2:3], 2.0, -v[33:34]
	v_fma_f64 v[101:102], v[103:104], 2.0, -v[64:65]
	v_add_f64 v[52:53], v[38:39], -v[52:53]
	v_add_f64 v[35:36], v[54:55], -v[36:37]
	s_waitcnt lgkmcnt(1)
	v_add_f64 v[79:80], v[12:13], -v[79:80]
	v_add_f64 v[83:84], v[14:15], -v[83:84]
	s_waitcnt lgkmcnt(0)
	v_add_f64 v[23:24], v[16:17], -v[23:24]
	v_add_f64 v[27:28], v[18:19], -v[27:28]
	v_fma_f64 v[81:82], v[81:82], 2.0, -v[42:43]
	v_fma_f64 v[4:5], v[4:5], 2.0, -v[62:63]
	;; [unrolled: 1-line block ×3, first 2 shown]
	v_mul_u32_u24_e32 v44, 0xc80, v142
	v_add_f64 v[107:108], v[33:34], v[97:98]
	v_fma_f64 v[103:104], v[105:106], 2.0, -v[66:67]
	v_fma_f64 v[85:86], v[85:86], 2.0, -v[58:59]
	v_add3_u32 v68, 0, v44, v68
	v_fma_f64 v[10:11], v[10:11], 2.0, -v[21:22]
	s_barrier
	v_fma_f64 v[49:50], v[50:51], 2.0, -v[47:48]
	v_add_f64 v[47:48], v[62:63], v[47:48]
	v_fma_f64 v[6:7], v[6:7], 2.0, -v[29:30]
	buffer_gl0_inv
	v_add_co_ci_u32_e64 v120, s0, 0, v148, s0
	v_fma_f64 v[37:38], v[38:39], 2.0, -v[52:53]
	v_fma_f64 v[12:13], v[12:13], 2.0, -v[79:80]
	v_add_f64 v[105:106], v[31:32], v[52:53]
	v_fma_f64 v[14:15], v[14:15], 2.0, -v[83:84]
	v_fma_f64 v[52:53], v[75:76], 2.0, -v[97:98]
	;; [unrolled: 1-line block ×7, first 2 shown]
	v_add_f64 v[77:78], v[2:3], -v[81:82]
	v_add_f64 v[81:82], v[60:61], v[99:100]
	v_add_f64 v[97:98], v[4:5], -v[101:102]
	v_add_f64 v[101:102], v[79:80], -v[29:30]
	;; [unrolled: 1-line block ×8, first 2 shown]
	v_add_f64 v[35:36], v[21:22], v[35:36]
	v_add_f64 v[99:100], v[10:11], -v[103:104]
	v_add_co_u32 v123, s0, 0x3660, v138
	v_add_f64 v[66:67], v[12:13], -v[37:38]
	v_fma_f64 v[29:30], v[31:32], 2.0, -v[105:106]
	v_add_f64 v[51:52], v[14:15], -v[52:53]
	v_fma_f64 v[31:32], v[33:34], 2.0, -v[107:108]
	v_add_f64 v[75:76], v[16:17], -v[75:76]
	v_add_f64 v[49:50], v[39:40], -v[49:50]
	v_fma_f64 v[37:38], v[62:63], 2.0, -v[47:48]
	v_add_f64 v[53:54], v[18:19], -v[54:55]
	v_fma_f64 v[2:3], v[2:3], 2.0, -v[77:78]
	v_fma_f64 v[33:34], v[60:61], 2.0, -v[81:82]
	;; [unrolled: 1-line block ×9, first 2 shown]
	ds_write2_b64 v145, v[6:7], v[105:106] offset0:72 offset1:172
	v_fma_f64 v[8:9], v[8:9], 2.0, -v[85:86]
	v_fma_f64 v[21:22], v[21:22], 2.0, -v[35:36]
	;; [unrolled: 1-line block ×3, first 2 shown]
	v_add_co_ci_u32_e64 v124, s0, 0, v148, s0
	v_fma_f64 v[105:106], v[12:13], 2.0, -v[66:67]
	v_fma_f64 v[109:110], v[14:15], 2.0, -v[51:52]
	v_add_co_u32 v56, s0, 0x3000, v138
	v_fma_f64 v[111:112], v[16:17], 2.0, -v[75:76]
	v_fma_f64 v[113:114], v[39:40], 2.0, -v[49:50]
	v_fma_f64 v[115:116], v[18:19], 2.0, -v[53:54]
	v_add_nc_u32_e32 v118, 0x400, v136
	v_add_co_ci_u32_e64 v57, s0, 0, v148, s0
	v_add_nc_u32_e32 v121, 0x400, v137
	v_add_nc_u32_e32 v122, 0x400, v68
	;; [unrolled: 1-line block ×3, first 2 shown]
	ds_write2_b64 v147, v[0:1], v[29:30] offset1:100
	ds_write2_b64 v136, v[2:3], v[31:32] offset1:100
	ds_write2_b64 v118, v[77:78], v[107:108] offset0:72 offset1:172
	ds_write2_b64 v137, v[8:9], v[33:34] offset1:100
	ds_write2_b64 v121, v[85:86], v[81:82] offset0:72 offset1:172
	;; [unrolled: 2-line block ×4, first 2 shown]
	s_waitcnt lgkmcnt(0)
	s_barrier
	buffer_gl0_inv
	ds_read2_b64 v[4:7], v127 offset1:160
	ds_read2st64_b64 v[0:3], v87 offset0:7 offset1:12
	ds_read2_b64 v[12:15], v133 offset0:64 offset1:224
	ds_read2_b64 v[16:19], v73 offset0:64 offset1:224
	;; [unrolled: 1-line block ×3, first 2 shown]
	ds_read2_b64 v[25:28], v134 offset1:160
	ds_read2st64_b64 v[8:11], v127 offset0:5 offset1:10
	ds_read2_b64 v[29:32], v95 offset1:160
	ds_read2_b64 v[33:36], v126 offset1:160
	ds_read2_b64 v[37:40], v125 offset0:64 offset1:224
	s_waitcnt lgkmcnt(0)
	s_barrier
	buffer_gl0_inv
	ds_write2_b64 v147, v[105:106], v[60:61] offset1:100
	ds_write2_b64 v145, v[66:67], v[101:102] offset0:72 offset1:172
	ds_write2_b64 v136, v[109:110], v[62:63] offset1:100
	ds_write2_b64 v118, v[51:52], v[41:42] offset0:72 offset1:172
	;; [unrolled: 2-line block ×5, first 2 shown]
	v_add_co_u32 v58, s0, s12, v45
	v_add_co_ci_u32_e64 v59, s0, s13, v46, s0
	s_waitcnt lgkmcnt(0)
	v_add_co_u32 v53, s0, 0x1800, v58
	v_add_co_ci_u32_e64 v54, s0, 0, v59, s0
	s_barrier
	buffer_gl0_inv
	s_clause 0x3
	global_load_dwordx4 v[41:44], v[119:120], off offset:16
	global_load_dwordx4 v[45:48], v[123:124], off offset:16
	;; [unrolled: 1-line block ×4, first 2 shown]
	v_add_nc_u32_e32 v60, 0xf00, v149
	v_add_nc_u32_e32 v61, 0x2d00, v149
	v_add_co_u32 v67, s0, s12, v60
	v_add_co_ci_u32_e64 v68, null, s13, 0, s0
	v_add_co_u32 v77, s0, s12, v61
	v_add_co_ci_u32_e64 v78, null, s13, 0, s0
	v_add_co_u32 v97, s0, 0x1860, v58
	v_add_co_ci_u32_e64 v98, s0, 0, v59, s0
	global_load_dwordx4 v[57:60], v[123:124], off offset:32
	v_add_co_u32 v65, s0, 0x1800, v67
	global_load_dwordx4 v[61:64], v[97:98], off offset:32
	v_add_co_ci_u32_e64 v66, s0, 0, v68, s0
	v_add_co_u32 v75, s0, 0x1800, v77
	v_add_co_ci_u32_e64 v76, s0, 0, v78, s0
	v_add_co_u32 v101, s0, 0x1860, v67
	;; [unrolled: 2-line block ×4, first 2 shown]
	v_add_co_ci_u32_e64 v110, s0, 0, v148, s0
	s_clause 0x8
	global_load_dwordx4 v[65:68], v[65:66], off offset:96
	global_load_dwordx4 v[75:78], v[75:76], off offset:96
	;; [unrolled: 1-line block ×9, first 2 shown]
	ds_read2_b64 v[117:120], v133 offset0:64 offset1:224
	ds_read2_b64 v[121:124], v91 offset0:64 offset1:224
	ds_read2_b64 v[133:136], v134 offset1:160
	v_cmp_lt_u32_e64 s0, 0x4f, v90
	v_add_nc_u32_e32 v91, 0x3400, v71
	s_waitcnt vmcnt(14) lgkmcnt(2)
	v_mul_f64 v[137:138], v[117:118], v[43:44]
	v_mul_f64 v[43:44], v[12:13], v[43:44]
	s_waitcnt vmcnt(13)
	v_mul_f64 v[139:140], v[119:120], v[47:48]
	v_mul_f64 v[47:48], v[14:15], v[47:48]
	s_waitcnt vmcnt(12) lgkmcnt(1)
	v_mul_f64 v[141:142], v[121:122], v[51:52]
	v_mul_f64 v[51:52], v[21:22], v[51:52]
	s_waitcnt vmcnt(11)
	v_mul_f64 v[143:144], v[123:124], v[55:56]
	v_mul_f64 v[55:56], v[23:24], v[55:56]
	v_fma_f64 v[137:138], v[12:13], v[41:42], v[137:138]
	v_fma_f64 v[117:118], v[117:118], v[41:42], -v[43:44]
	ds_read2_b64 v[41:44], v126 offset1:160
	v_fma_f64 v[139:140], v[14:15], v[45:46], v[139:140]
	ds_read2_b64 v[12:15], v125 offset0:64 offset1:224
	s_waitcnt vmcnt(10) lgkmcnt(2)
	v_mul_f64 v[125:126], v[133:134], v[59:60]
	v_mul_f64 v[59:60], v[25:26], v[59:60]
	s_waitcnt vmcnt(9)
	v_mul_f64 v[145:146], v[135:136], v[63:64]
	v_fma_f64 v[119:120], v[119:120], v[45:46], -v[47:48]
	ds_read2_b64 v[45:48], v95 offset1:160
	v_fma_f64 v[141:142], v[21:22], v[49:50], v[141:142]
	v_fma_f64 v[121:122], v[121:122], v[49:50], -v[51:52]
	ds_read2_b64 v[49:52], v73 offset0:64 offset1:224
	v_fma_f64 v[143:144], v[23:24], v[53:54], v[143:144]
	ds_read2st64_b64 v[21:24], v87 offset0:7 offset1:12
	v_mul_f64 v[63:64], v[27:28], v[63:64]
	v_fma_f64 v[53:54], v[123:124], v[53:54], -v[55:56]
	v_cndmask_b32_e64 v73, 0, 0x3200, s0
	v_add_nc_u32_e32 v95, 0x4000, v71
	s_waitcnt vmcnt(8) lgkmcnt(4)
	v_mul_f64 v[55:56], v[41:42], v[67:68]
	s_waitcnt vmcnt(7)
	v_mul_f64 v[123:124], v[43:44], v[77:78]
	s_waitcnt vmcnt(5) lgkmcnt(3)
	v_mul_f64 v[149:150], v[14:15], v[85:86]
	v_mul_f64 v[147:148], v[12:13], v[81:82]
	;; [unrolled: 1-line block ×3, first 2 shown]
	v_fma_f64 v[125:126], v[25:26], v[57:58], v[125:126]
	v_fma_f64 v[57:58], v[133:134], v[57:58], -v[59:60]
	s_waitcnt vmcnt(4) lgkmcnt(2)
	v_mul_f64 v[25:26], v[45:46], v[99:100]
	s_waitcnt vmcnt(3)
	v_mul_f64 v[59:60], v[47:48], v[103:104]
	v_fma_f64 v[27:28], v[27:28], v[61:62], v[145:146]
	s_waitcnt vmcnt(2) lgkmcnt(1)
	v_mul_f64 v[133:134], v[51:52], v[107:108]
	v_mul_f64 v[107:108], v[18:19], v[107:108]
	s_waitcnt vmcnt(1) lgkmcnt(0)
	v_mul_f64 v[145:146], v[23:24], v[111:112]
	v_mul_f64 v[81:82], v[37:38], v[81:82]
	v_fma_f64 v[61:62], v[135:136], v[61:62], -v[63:64]
	v_mul_f64 v[63:64], v[33:34], v[67:68]
	s_waitcnt vmcnt(0)
	v_mul_f64 v[67:68], v[49:50], v[115:116]
	v_fma_f64 v[33:34], v[33:34], v[65:66], v[55:56]
	v_mul_f64 v[55:56], v[2:3], v[111:112]
	v_fma_f64 v[111:112], v[39:40], v[83:84], v[149:150]
	v_mul_f64 v[39:40], v[39:40], v[85:86]
	v_mul_f64 v[85:86], v[31:32], v[103:104]
	v_fma_f64 v[35:36], v[35:36], v[75:76], v[123:124]
	v_fma_f64 v[37:38], v[37:38], v[79:80], v[147:148]
	;; [unrolled: 1-line block ×4, first 2 shown]
	v_mul_f64 v[29:30], v[29:30], v[99:100]
	v_mul_f64 v[59:60], v[16:17], v[115:116]
	v_fma_f64 v[99:100], v[18:19], v[105:106], v[133:134]
	v_fma_f64 v[2:3], v[2:3], v[109:110], v[145:146]
	v_fma_f64 v[51:52], v[51:52], v[105:106], -v[107:108]
	v_fma_f64 v[43:44], v[43:44], v[75:76], -v[77:78]
	;; [unrolled: 1-line block ×4, first 2 shown]
	v_fma_f64 v[67:68], v[16:17], v[113:114], v[67:68]
	v_add_f64 v[63:64], v[141:142], -v[125:126]
	v_add_f64 v[27:28], v[143:144], -v[27:28]
	;; [unrolled: 1-line block ×4, first 2 shown]
	v_add_nc_u32_e32 v105, 0x2400, v127
	v_fma_f64 v[55:56], v[23:24], v[109:110], -v[55:56]
	ds_read2_b64 v[16:19], v127 offset1:160
	ds_read2st64_b64 v[23:26], v127 offset0:5 offset1:10
	v_fma_f64 v[14:15], v[14:15], v[83:84], -v[39:40]
	v_fma_f64 v[39:40], v[47:48], v[101:102], -v[85:86]
	v_add_f64 v[47:48], v[4:5], -v[137:138]
	v_add_f64 v[37:38], v[33:34], -v[37:38]
	;; [unrolled: 1-line block ×4, first 2 shown]
	v_fma_f64 v[29:30], v[45:46], v[97:98], -v[29:30]
	v_fma_f64 v[45:46], v[49:50], v[113:114], -v[59:60]
	v_add_f64 v[49:50], v[6:7], -v[139:140]
	v_add_f64 v[59:60], v[2:3], -v[99:100]
	;; [unrolled: 1-line block ×3, first 2 shown]
	v_lshlrev_b32_e32 v99, 3, v20
	v_add_nc_u32_e32 v106, 0xc00, v127
	v_add_f64 v[12:13], v[41:42], -v[12:13]
	v_add_f64 v[67:68], v[10:11], -v[67:68]
	v_fma_f64 v[81:82], v[141:142], 2.0, -v[63:64]
	v_fma_f64 v[83:84], v[143:144], 2.0, -v[27:28]
	v_add3_u32 v73, 0, v73, v99
	s_waitcnt lgkmcnt(1)
	v_add_f64 v[77:78], v[16:17], -v[117:118]
	v_add_f64 v[79:80], v[18:19], -v[119:120]
	;; [unrolled: 1-line block ×3, first 2 shown]
	v_fma_f64 v[53:54], v[53:54], 2.0, -v[61:62]
	v_add_f64 v[14:15], v[43:44], -v[14:15]
	v_add_f64 v[39:40], v[21:22], -v[39:40]
	v_fma_f64 v[4:5], v[4:5], 2.0, -v[47:48]
	v_fma_f64 v[33:34], v[33:34], 2.0, -v[37:38]
	;; [unrolled: 1-line block ×4, first 2 shown]
	s_waitcnt lgkmcnt(0)
	v_add_f64 v[29:30], v[23:24], -v[29:30]
	v_add_f64 v[45:46], v[25:26], -v[45:46]
	v_fma_f64 v[6:7], v[6:7], 2.0, -v[49:50]
	v_fma_f64 v[2:3], v[2:3], 2.0, -v[59:60]
	;; [unrolled: 1-line block ×3, first 2 shown]
	v_add_f64 v[97:98], v[49:50], v[57:58]
	v_add_f64 v[61:62], v[65:66], v[61:62]
	v_fma_f64 v[41:42], v[41:42], 2.0, -v[12:13]
	v_fma_f64 v[10:11], v[10:11], 2.0, -v[67:68]
	v_add_f64 v[12:13], v[31:32], v[12:13]
	v_add_nc_u32_e32 v107, 0x1800, v127
	v_add_nc_u32_e32 v115, 0x4c00, v71
	v_fma_f64 v[16:17], v[16:17], 2.0, -v[77:78]
	v_fma_f64 v[18:19], v[18:19], 2.0, -v[79:80]
	v_add_f64 v[85:86], v[47:48], v[51:52]
	v_fma_f64 v[51:52], v[55:56], 2.0, -v[51:52]
	v_fma_f64 v[55:56], v[121:122], 2.0, -v[57:58]
	v_fma_f64 v[20:21], v[21:22], 2.0, -v[39:40]
	v_fma_f64 v[43:44], v[43:44], 2.0, -v[14:15]
	v_add_f64 v[14:15], v[67:68], v[14:15]
	v_add_f64 v[59:60], v[77:78], -v[59:60]
	v_add_f64 v[33:34], v[0:1], -v[33:34]
	v_fma_f64 v[22:23], v[23:24], 2.0, -v[29:30]
	v_fma_f64 v[24:25], v[25:26], 2.0, -v[45:46]
	v_add_f64 v[57:58], v[6:7], -v[81:82]
	v_add_f64 v[2:3], v[4:5], -v[2:3]
	;; [unrolled: 1-line block ×7, first 2 shown]
	v_fma_f64 v[31:32], v[31:32], 2.0, -v[12:13]
	v_add_f64 v[75:76], v[45:46], -v[75:76]
	v_add_nc_u32_e32 v71, 0x5800, v71
	s_barrier
	v_fma_f64 v[26:27], v[47:48], 2.0, -v[85:86]
	v_fma_f64 v[47:48], v[49:50], 2.0, -v[97:98]
	v_add_f64 v[49:50], v[16:17], -v[51:52]
	v_add_f64 v[51:52], v[18:19], -v[55:56]
	;; [unrolled: 1-line block ×3, first 2 shown]
	v_fma_f64 v[55:56], v[65:66], 2.0, -v[61:62]
	v_fma_f64 v[63:64], v[67:68], 2.0, -v[14:15]
	;; [unrolled: 1-line block ×3, first 2 shown]
	v_add_f64 v[53:54], v[22:23], -v[53:54]
	v_add_f64 v[43:44], v[24:25], -v[43:44]
	v_fma_f64 v[6:7], v[6:7], 2.0, -v[57:58]
	v_fma_f64 v[4:5], v[4:5], 2.0, -v[2:3]
	;; [unrolled: 1-line block ×3, first 2 shown]
	buffer_gl0_inv
	ds_write2_b64 v105, v[85:86], v[97:98] offset0:48 offset1:208
	v_fma_f64 v[85:86], v[29:30], 2.0, -v[99:100]
	v_fma_f64 v[10:11], v[10:11], 2.0, -v[35:36]
	ds_write2_b64 v106, v[26:27], v[47:48] offset0:16 offset1:176
	ds_write2_b64 v107, v[2:3], v[57:58] offset0:32 offset1:192
	v_fma_f64 v[47:48], v[16:17], 2.0, -v[49:50]
	v_fma_f64 v[57:58], v[18:19], 2.0, -v[51:52]
	;; [unrolled: 1-line block ×3, first 2 shown]
	ds_write2_b64 v127, v[4:5], v[6:7] offset1:160
	ds_write_b64 v73, v[8:9]
	ds_write_b64 v73, v[55:56] offset:3200
	ds_write_b64 v73, v[81:82] offset:6400
	;; [unrolled: 1-line block ×3, first 2 shown]
	ds_write2_b64 v91, v[0:1], v[10:11] offset0:16 offset1:176
	ds_write2_b64 v95, v[31:32], v[63:64] offset0:32 offset1:192
	;; [unrolled: 1-line block ×4, first 2 shown]
	v_fma_f64 v[97:98], v[22:23], 2.0, -v[53:54]
	v_fma_f64 v[103:104], v[24:25], 2.0, -v[43:44]
	s_waitcnt lgkmcnt(0)
	s_barrier
	buffer_gl0_inv
	ds_read2_b64 v[16:19], v127 offset1:160
	ds_read2st64_b64 v[0:3], v127 offset0:15 offset1:25
	ds_read_b64 v[64:65], v130
	ds_read_b64 v[66:67], v127 offset:24320
	ds_read2_b64 v[28:31], v128 offset0:32 offset1:192
	ds_read2st64_b64 v[12:15], v127 offset0:5 offset1:10
	ds_read2st64_b64 v[8:11], v87 offset0:7 offset1:12
	ds_read2_b64 v[24:27], v129 offset0:32 offset1:192
	ds_read2_b64 v[20:23], v131 offset0:32 offset1:192
	ds_read2st64_b64 v[4:7], v87 offset0:17 offset1:22
	ds_read2_b64 v[32:35], v132 offset0:32 offset1:192
	v_fma_f64 v[77:78], v[77:78], 2.0, -v[59:60]
	v_fma_f64 v[79:80], v[79:80], 2.0, -v[83:84]
	;; [unrolled: 1-line block ×4, first 2 shown]
	s_waitcnt lgkmcnt(0)
	s_barrier
	buffer_gl0_inv
	ds_write2_b64 v106, v[77:78], v[79:80] offset0:16 offset1:176
	ds_write2_b64 v105, v[59:60], v[83:84] offset0:48 offset1:208
	;; [unrolled: 1-line block ×3, first 2 shown]
	ds_write2_b64 v127, v[47:48], v[57:58] offset1:160
	ds_write_b64 v73, v[97:98]
	ds_write_b64 v73, v[85:86] offset:3200
	ds_write_b64 v73, v[53:54] offset:6400
	;; [unrolled: 1-line block ×3, first 2 shown]
	ds_write2_b64 v91, v[101:102], v[103:104] offset0:16 offset1:176
	ds_write2_b64 v95, v[39:40], v[45:46] offset0:32 offset1:192
	;; [unrolled: 1-line block ×4, first 2 shown]
	s_waitcnt lgkmcnt(0)
	s_barrier
	buffer_gl0_inv
	s_and_saveexec_b32 s0, vcc_lo
	s_cbranch_execz .LBB0_15
; %bb.14:
	v_mov_b32_e32 v95, v69
	v_add_nc_u32_e32 v68, 0x5a0, v90
	v_add_nc_u32_e32 v38, 0x460, v90
	v_mov_b32_e32 v39, v69
	v_add_nc_u32_e32 v44, 0x3c0, v90
	v_lshlrev_b64 v[36:37], 4, v[94:95]
	v_lshlrev_b64 v[40:41], 4, v[68:69]
	v_mov_b32_e32 v45, v69
	v_mov_b32_e32 v71, v69
	;; [unrolled: 1-line block ×4, first 2 shown]
	v_add_co_u32 v36, vcc_lo, s12, v36
	v_add_co_ci_u32_e32 v37, vcc_lo, s13, v37, vcc_lo
	v_add_co_u32 v42, vcc_lo, s12, v40
	v_add_co_ci_u32_e32 v43, vcc_lo, s13, v41, vcc_lo
	v_add_co_u32 v36, vcc_lo, 0x6000, v36
	v_lshlrev_b64 v[40:41], 4, v[38:39]
	v_add_co_ci_u32_e32 v37, vcc_lo, 0, v37, vcc_lo
	v_add_co_u32 v42, vcc_lo, 0x6000, v42
	v_add_co_ci_u32_e32 v43, vcc_lo, 0, v43, vcc_lo
	v_add_co_u32 v40, vcc_lo, s12, v40
	v_add_co_ci_u32_e32 v41, vcc_lo, s13, v41, vcc_lo
	v_lshlrev_b64 v[48:49], 4, v[44:45]
	global_load_dwordx4 v[36:39], v[36:37], off offset:864
	v_add_co_u32 v46, vcc_lo, 0x6000, v40
	v_add_co_ci_u32_e32 v47, vcc_lo, 0, v41, vcc_lo
	global_load_dwordx4 v[40:43], v[42:43], off offset:864
	v_lshlrev_b64 v[51:52], 4, v[70:71]
	v_add_co_u32 v56, vcc_lo, s12, v48
	v_add_co_ci_u32_e32 v57, vcc_lo, s13, v49, vcc_lo
	v_lshlrev_b64 v[48:49], 4, v[96:97]
	v_add_co_u32 v51, vcc_lo, s12, v51
	v_add_co_ci_u32_e32 v52, vcc_lo, s13, v52, vcc_lo
	global_load_dwordx4 v[44:47], v[46:47], off offset:864
	v_add_co_u32 v53, vcc_lo, s12, v48
	v_add_co_ci_u32_e32 v54, vcc_lo, s13, v49, vcc_lo
	v_add_co_u32 v48, vcc_lo, 0x6000, v51
	v_add_co_ci_u32_e32 v49, vcc_lo, 0, v52, vcc_lo
	v_add_co_u32 v52, vcc_lo, 0x6000, v53
	v_mov_b32_e32 v91, v69
	global_load_dwordx4 v[76:79], v[48:49], off offset:864
	v_add_co_ci_u32_e32 v53, vcc_lo, 0, v54, vcc_lo
	v_lshlrev_b64 v[54:55], 4, v[72:73]
	v_lshlrev_b64 v[48:49], 4, v[90:91]
	v_add_nc_u32_e32 v50, 0x320, v90
	global_load_dwordx4 v[80:83], v[52:53], off offset:864
	v_mov_b32_e32 v51, v69
	v_mov_b32_e32 v75, v69
	v_add_co_u32 v52, vcc_lo, s12, v54
	v_add_co_ci_u32_e32 v53, vcc_lo, s13, v55, vcc_lo
	v_add_co_u32 v54, vcc_lo, s12, v48
	v_add_co_ci_u32_e32 v55, vcc_lo, s13, v49, vcc_lo
	;; [unrolled: 2-line block ×5, first 2 shown]
	v_lshlrev_b64 v[50:51], 4, v[50:51]
	s_clause 0x2
	global_load_dwordx4 v[94:97], v[48:49], off offset:864
	global_load_dwordx4 v[98:101], v[52:53], off offset:864
	;; [unrolled: 1-line block ×3, first 2 shown]
	v_lshlrev_b64 v[48:49], 4, v[74:75]
	v_add_nc_u32_e32 v125, 0xa0, v90
	v_mul_lo_u32 v68, s3, v92
	v_mul_lo_u32 v93, s2, v93
	v_add_co_u32 v50, vcc_lo, s12, v50
	v_add_co_ci_u32_e32 v51, vcc_lo, s13, v51, vcc_lo
	v_add_co_u32 v52, vcc_lo, s12, v48
	v_add_co_ci_u32_e32 v53, vcc_lo, s13, v49, vcc_lo
	;; [unrolled: 2-line block ×4, first 2 shown]
	s_clause 0x1
	global_load_dwordx4 v[72:75], v[48:49], off offset:864
	global_load_dwordx4 v[106:109], v[50:51], off offset:864
	v_mad_u64_u32 v[91:92], null, s2, v92, 0
	ds_read2st64_b64 v[48:51], v87 offset0:17 offset1:22
	ds_read_b64 v[122:123], v127 offset:24320
	ds_read_b64 v[70:71], v130
	ds_read2_b64 v[110:113], v132 offset0:32 offset1:192
	ds_read2st64_b64 v[52:55], v127 offset0:15 offset1:25
	ds_read2_b64 v[114:117], v131 offset0:32 offset1:192
	ds_read2st64_b64 v[56:59], v87 offset0:7 offset1:12
	ds_read2st64_b64 v[60:63], v127 offset0:5 offset1:10
	ds_read2_b64 v[84:87], v129 offset0:32 offset1:192
	ds_read2_b64 v[118:121], v128 offset0:32 offset1:192
	v_add_nc_u32_e32 v132, 0x460, v90
	v_mul_hi_u32 v133, 0x51eb851f, v125
	v_mul_hi_u32 v124, 0x51eb851f, v90
	v_add_nc_u32_e32 v126, 0x140, v90
	v_add_nc_u32_e32 v129, 0x280, v90
	v_add3_u32 v92, v92, v93, v68
	v_mul_hi_u32 v68, 0x51eb851f, v132
	v_add_nc_u32_e32 v128, 0x1e0, v90
	v_mul_hi_u32 v134, 0x51eb851f, v126
	v_lshrrev_b32_e32 v133, 9, v133
	v_lshrrev_b32_e32 v124, 9, v124
	v_mul_hi_u32 v136, 0x51eb851f, v129
	v_add_nc_u32_e32 v142, 0x500, v90
	v_mul_hi_u32 v135, 0x51eb851f, v128
	v_lshrrev_b32_e32 v144, 9, v68
	v_mul_u32_u24_e32 v68, 0x640, v133
	v_mul_u32_u24_e32 v124, 0x640, v124
	v_lshrrev_b32_e32 v134, 9, v134
	v_lshlrev_b64 v[91:92], 4, v[91:92]
	v_add_nc_u32_e32 v130, 0x320, v90
	v_sub_nc_u32_e32 v68, v125, v68
	v_add_nc_u32_e32 v131, 0x3c0, v90
	v_add_nc_u32_e32 v146, 0x5a0, v90
	v_sub_nc_u32_e32 v145, v90, v124
	v_mul_u32_u24_e32 v90, 0x640, v134
	v_mad_u32_u24 v68, 0xc80, v133, v68
	v_lshlrev_b64 v[88:89], 4, v[88:89]
	v_mul_hi_u32 v93, 0x51eb851f, v142
	v_lshrrev_b32_e32 v136, 9, v136
	v_add_co_u32 v125, vcc_lo, s10, v91
	v_mul_hi_u32 v137, 0x51eb851f, v130
	v_lshrrev_b32_e32 v135, 9, v135
	v_add_co_ci_u32_e32 v92, vcc_lo, s11, v92, vcc_lo
	v_sub_nc_u32_e32 v126, v126, v90
	v_lshlrev_b64 v[90:91], 4, v[68:69]
	v_add_nc_u32_e32 v68, 0x640, v68
	v_mul_hi_u32 v138, 0x51eb851f, v131
	v_mul_u32_u24_e32 v124, 0x640, v136
	v_add_co_u32 v154, vcc_lo, v125, v88
	v_lshrrev_b32_e32 v147, 9, v93
	v_mul_u32_u24_e32 v93, 0x640, v135
	v_add_co_ci_u32_e32 v155, vcc_lo, v92, v89, vcc_lo
	v_lshlrev_b64 v[88:89], 4, v[68:69]
	v_mad_u32_u24 v68, 0xc80, v134, v126
	v_lshrrev_b32_e32 v140, 9, v137
	v_sub_nc_u32_e32 v141, v129, v124
	v_add_co_u32 v124, vcc_lo, v154, v90
	v_mul_hi_u32 v139, 0x51eb851f, v146
	v_lshrrev_b32_e32 v143, 9, v138
	v_sub_nc_u32_e32 v93, v128, v93
	v_add_co_ci_u32_e32 v125, vcc_lo, v155, v91, vcc_lo
	v_lshlrev_b64 v[90:91], 4, v[68:69]
	v_add_nc_u32_e32 v68, 0x640, v68
	v_mul_u32_u24_e32 v137, 0x640, v140
	v_add_co_u32 v128, vcc_lo, v154, v88
	v_mul_u32_u24_e32 v138, 0x640, v143
	v_add_co_ci_u32_e32 v129, vcc_lo, v155, v89, vcc_lo
	v_lshlrev_b64 v[88:89], 4, v[68:69]
	v_mad_u32_u24 v68, 0xc80, v135, v93
	v_lshrrev_b32_e32 v148, 9, v139
	v_mul_u32_u24_e32 v139, 0x640, v144
	v_sub_nc_u32_e32 v151, v130, v137
	v_add_co_u32 v130, vcc_lo, v154, v90
	v_sub_nc_u32_e32 v152, v131, v138
	v_add_co_ci_u32_e32 v131, vcc_lo, v155, v91, vcc_lo
	v_lshlrev_b64 v[90:91], 4, v[68:69]
	v_add_nc_u32_e32 v68, 0x640, v68
	v_sub_nc_u32_e32 v153, v132, v139
	v_add_co_u32 v132, vcc_lo, v154, v88
	v_add_co_ci_u32_e32 v133, vcc_lo, v155, v89, vcc_lo
	v_lshlrev_b64 v[88:89], 4, v[68:69]
	v_mad_u32_u24 v68, 0xc80, v136, v141
	v_add_co_u32 v134, vcc_lo, v154, v90
	v_add_co_ci_u32_e32 v135, vcc_lo, v155, v91, vcc_lo
	v_lshlrev_b64 v[90:91], 4, v[68:69]
	v_add_nc_u32_e32 v68, 0x640, v68
	v_add_co_u32 v136, vcc_lo, v154, v88
	v_add_co_ci_u32_e32 v137, vcc_lo, v155, v89, vcc_lo
	v_lshlrev_b64 v[88:89], 4, v[68:69]
	v_mad_u32_u24 v68, 0xc80, v140, v151
	v_add_co_u32 v140, vcc_lo, v154, v90
	v_add_co_ci_u32_e32 v141, vcc_lo, v155, v91, vcc_lo
	v_mul_u32_u24_e32 v149, 0x640, v147
	v_lshlrev_b32_e32 v126, 4, v145
	v_mul_u32_u24_e32 v150, 0x640, v148
	v_sub_nc_u32_e32 v149, v142, v149
	v_sub_nc_u32_e32 v146, v146, v150
	s_waitcnt vmcnt(9)
	v_mul_f64 v[92:93], v[34:35], v[38:39]
	s_waitcnt lgkmcnt(6)
	v_mul_f64 v[38:39], v[112:113], v[38:39]
	s_waitcnt vmcnt(7)
	v_mul_f64 v[138:139], v[32:33], v[46:47]
	v_mul_f64 v[46:47], v[110:111], v[46:47]
	v_fma_f64 v[90:91], v[36:37], v[112:113], -v[92:93]
	v_fma_f64 v[92:93], v[34:35], v[36:37], v[38:39]
	v_add_co_u32 v112, vcc_lo, v154, v88
	v_add_co_ci_u32_e32 v113, vcc_lo, v155, v89, vcc_lo
	s_waitcnt vmcnt(6)
	v_mul_f64 v[38:39], v[30:31], v[78:79]
	s_waitcnt lgkmcnt(0)
	v_mul_f64 v[78:79], v[120:121], v[78:79]
	v_lshlrev_b64 v[34:35], 4, v[68:69]
	v_add_nc_u32_e32 v68, 0x640, v68
	v_lshlrev_b64 v[36:37], 4, v[68:69]
	v_mad_u32_u24 v68, 0xc80, v143, v152
	v_fma_f64 v[88:89], v[44:45], v[110:111], -v[138:139]
	v_fma_f64 v[46:47], v[32:33], v[44:45], v[46:47]
	s_waitcnt vmcnt(5)
	v_mul_f64 v[32:33], v[28:29], v[82:83]
	v_mul_f64 v[44:45], v[118:119], v[82:83]
	;; [unrolled: 1-line block ×3, first 2 shown]
	v_add_co_u32 v142, vcc_lo, v154, v34
	v_add_co_ci_u32_e32 v143, vcc_lo, v155, v35, vcc_lo
	v_lshlrev_b64 v[34:35], 4, v[68:69]
	v_add_nc_u32_e32 v68, 0x640, v68
	v_add_co_u32 v110, vcc_lo, v154, v36
	v_fma_f64 v[120:121], v[76:77], v[120:121], -v[38:39]
	v_mul_f64 v[38:39], v[122:123], v[42:43]
	v_fma_f64 v[76:77], v[30:31], v[76:77], v[78:79]
	v_add_co_ci_u32_e32 v111, vcc_lo, v155, v37, vcc_lo
	v_lshlrev_b64 v[36:37], 4, v[68:69]
	s_waitcnt vmcnt(3)
	v_mul_f64 v[42:43], v[2:3], v[100:101]
	v_mul_f64 v[100:101], v[54:55], v[100:101]
	v_mad_u32_u24 v68, 0xc80, v144, v153
	v_add_co_u32 v138, vcc_lo, v154, v34
	v_fma_f64 v[78:79], v[80:81], v[118:119], -v[32:33]
	v_fma_f64 v[28:29], v[28:29], v[80:81], v[44:45]
	s_waitcnt vmcnt(2)
	v_mul_f64 v[44:45], v[22:23], v[104:105]
	v_mul_f64 v[80:81], v[116:117], v[104:105]
	;; [unrolled: 1-line block ×4, first 2 shown]
	v_fma_f64 v[82:83], v[40:41], v[122:123], -v[82:83]
	v_add_co_ci_u32_e32 v139, vcc_lo, v155, v35, vcc_lo
	v_lshlrev_b64 v[34:35], 4, v[68:69]
	v_add_nc_u32_e32 v68, 0x640, v68
	v_add_co_u32 v144, vcc_lo, v154, v36
	v_fma_f64 v[38:39], v[66:67], v[40:41], v[38:39]
	ds_read2_b64 v[30:33], v127 offset1:160
	v_add_co_ci_u32_e32 v145, vcc_lo, v155, v37, vcc_lo
	v_fma_f64 v[42:43], v[98:99], v[54:55], -v[42:43]
	s_waitcnt vmcnt(1)
	v_mul_f64 v[40:41], v[20:21], v[74:75]
	s_waitcnt vmcnt(0)
	v_mul_f64 v[66:67], v[26:27], v[108:109]
	v_mul_f64 v[108:109], v[86:87], v[108:109]
	;; [unrolled: 1-line block ×3, first 2 shown]
	v_fma_f64 v[2:3], v[2:3], v[98:99], v[100:101]
	v_lshlrev_b64 v[36:37], 4, v[68:69]
	v_mad_u32_u24 v68, 0xc80, v147, v149
	v_add_co_u32 v118, vcc_lo, v154, v34
	v_fma_f64 v[74:75], v[94:95], v[84:85], -v[104:105]
	v_fma_f64 v[24:25], v[24:25], v[94:95], v[96:97]
	v_add_co_ci_u32_e32 v119, vcc_lo, v155, v35, vcc_lo
	v_add_co_u32 v126, vcc_lo, v154, v126
	v_lshlrev_b64 v[34:35], 4, v[68:69]
	v_add_nc_u32_e32 v68, 0x640, v68
	v_add_co_ci_u32_e32 v127, vcc_lo, 0, v155, vcc_lo
	v_fma_f64 v[104:105], v[102:103], v[116:117], -v[44:45]
	v_fma_f64 v[80:81], v[22:23], v[102:103], v[80:81]
	v_add_co_u32 v98, vcc_lo, v154, v36
	v_fma_f64 v[84:85], v[106:107], v[86:87], -v[66:67]
	v_fma_f64 v[86:87], v[26:27], v[106:107], v[108:109]
	v_fma_f64 v[96:97], v[72:73], v[114:115], -v[40:41]
	v_fma_f64 v[54:55], v[20:21], v[72:73], v[54:55]
	v_add_co_ci_u32_e32 v99, vcc_lo, v155, v37, vcc_lo
	v_lshlrev_b64 v[36:37], 4, v[68:69]
	v_add_co_u32 v100, vcc_lo, v154, v34
	v_mad_u32_u24 v68, 0xc80, v148, v146
	v_add_co_ci_u32_e32 v101, vcc_lo, v155, v35, vcc_lo
	v_add_co_u32 v122, vcc_lo, 0x6000, v126
	v_add_co_ci_u32_e32 v123, vcc_lo, 0, v127, vcc_lo
	v_add_co_u32 v102, vcc_lo, v154, v36
	v_lshlrev_b64 v[94:95], 4, v[68:69]
	v_add_nc_u32_e32 v68, 0x640, v68
	v_add_f64 v[20:21], v[6:7], -v[38:39]
	s_waitcnt lgkmcnt(0)
	v_add_f64 v[40:41], v[30:31], -v[42:43]
	v_add_f64 v[38:39], v[16:17], -v[2:3]
	v_add_co_ci_u32_e32 v103, vcc_lo, v155, v37, vcc_lo
	v_add_f64 v[36:37], v[32:33], -v[78:79]
	v_add_f64 v[34:35], v[18:19], -v[28:29]
	;; [unrolled: 1-line block ×4, first 2 shown]
	v_lshlrev_b64 v[106:107], 4, v[68:69]
	v_add_f64 v[68:69], v[56:57], -v[74:75]
	v_add_f64 v[66:67], v[8:9], -v[24:25]
	;; [unrolled: 1-line block ×13, first 2 shown]
	v_fma_f64 v[90:91], v[30:31], 2.0, -v[40:41]
	v_fma_f64 v[88:89], v[16:17], 2.0, -v[38:39]
	v_add_co_u32 v28, vcc_lo, v154, v94
	v_fma_f64 v[32:33], v[32:33], 2.0, -v[36:37]
	v_fma_f64 v[30:31], v[18:19], 2.0, -v[34:35]
	;; [unrolled: 1-line block ×4, first 2 shown]
	v_add_co_ci_u32_e32 v29, vcc_lo, v155, v95, vcc_lo
	v_fma_f64 v[56:57], v[56:57], 2.0, -v[68:69]
	v_fma_f64 v[54:55], v[8:9], 2.0, -v[66:67]
	v_fma_f64 v[62:63], v[62:63], 2.0, -v[74:75]
	v_fma_f64 v[60:61], v[14:15], 2.0, -v[72:73]
	v_fma_f64 v[12:13], v[58:59], 2.0, -v[78:79]
	v_fma_f64 v[10:11], v[10:11], 2.0, -v[76:77]
	v_fma_f64 v[2:3], v[50:51], 2.0, -v[22:23]
	v_fma_f64 v[52:53], v[52:53], 2.0, -v[82:83]
	v_fma_f64 v[50:51], v[0:1], 2.0, -v[80:81]
	v_fma_f64 v[48:49], v[48:49], 2.0, -v[86:87]
	v_fma_f64 v[46:47], v[4:5], 2.0, -v[84:85]
	v_fma_f64 v[94:95], v[70:71], 2.0, -v[26:27]
	v_fma_f64 v[92:93], v[64:65], 2.0, -v[24:25]
	v_fma_f64 v[0:1], v[6:7], 2.0, -v[20:21]
	v_add_co_u32 v4, vcc_lo, v154, v106
	v_add_co_ci_u32_e32 v5, vcc_lo, v155, v107, vcc_lo
	global_store_dwordx4 v[122:123], v[38:41], off offset:1024
	global_store_dwordx4 v[126:127], v[88:91], off
	global_store_dwordx4 v[124:125], v[30:33], off
	;; [unrolled: 1-line block ×19, first 2 shown]
.LBB0_15:
	s_endpgm
	.section	.rodata,"a",@progbits
	.p2align	6, 0x0
	.amdhsa_kernel fft_rtc_back_len3200_factors_10_10_4_4_2_wgs_160_tpt_160_halfLds_dp_op_CI_CI_unitstride_sbrr_dirReg
		.amdhsa_group_segment_fixed_size 0
		.amdhsa_private_segment_fixed_size 0
		.amdhsa_kernarg_size 104
		.amdhsa_user_sgpr_count 6
		.amdhsa_user_sgpr_private_segment_buffer 1
		.amdhsa_user_sgpr_dispatch_ptr 0
		.amdhsa_user_sgpr_queue_ptr 0
		.amdhsa_user_sgpr_kernarg_segment_ptr 1
		.amdhsa_user_sgpr_dispatch_id 0
		.amdhsa_user_sgpr_flat_scratch_init 0
		.amdhsa_user_sgpr_private_segment_size 0
		.amdhsa_wavefront_size32 1
		.amdhsa_uses_dynamic_stack 0
		.amdhsa_system_sgpr_private_segment_wavefront_offset 0
		.amdhsa_system_sgpr_workgroup_id_x 1
		.amdhsa_system_sgpr_workgroup_id_y 0
		.amdhsa_system_sgpr_workgroup_id_z 0
		.amdhsa_system_sgpr_workgroup_info 0
		.amdhsa_system_vgpr_workitem_id 0
		.amdhsa_next_free_vgpr 161
		.amdhsa_next_free_sgpr 27
		.amdhsa_reserve_vcc 1
		.amdhsa_reserve_flat_scratch 0
		.amdhsa_float_round_mode_32 0
		.amdhsa_float_round_mode_16_64 0
		.amdhsa_float_denorm_mode_32 3
		.amdhsa_float_denorm_mode_16_64 3
		.amdhsa_dx10_clamp 1
		.amdhsa_ieee_mode 1
		.amdhsa_fp16_overflow 0
		.amdhsa_workgroup_processor_mode 1
		.amdhsa_memory_ordered 1
		.amdhsa_forward_progress 0
		.amdhsa_shared_vgpr_count 0
		.amdhsa_exception_fp_ieee_invalid_op 0
		.amdhsa_exception_fp_denorm_src 0
		.amdhsa_exception_fp_ieee_div_zero 0
		.amdhsa_exception_fp_ieee_overflow 0
		.amdhsa_exception_fp_ieee_underflow 0
		.amdhsa_exception_fp_ieee_inexact 0
		.amdhsa_exception_int_div_zero 0
	.end_amdhsa_kernel
	.text
.Lfunc_end0:
	.size	fft_rtc_back_len3200_factors_10_10_4_4_2_wgs_160_tpt_160_halfLds_dp_op_CI_CI_unitstride_sbrr_dirReg, .Lfunc_end0-fft_rtc_back_len3200_factors_10_10_4_4_2_wgs_160_tpt_160_halfLds_dp_op_CI_CI_unitstride_sbrr_dirReg
                                        ; -- End function
	.section	.AMDGPU.csdata,"",@progbits
; Kernel info:
; codeLenInByte = 15372
; NumSgprs: 29
; NumVgprs: 161
; ScratchSize: 0
; MemoryBound: 1
; FloatMode: 240
; IeeeMode: 1
; LDSByteSize: 0 bytes/workgroup (compile time only)
; SGPRBlocks: 3
; VGPRBlocks: 20
; NumSGPRsForWavesPerEU: 29
; NumVGPRsForWavesPerEU: 161
; Occupancy: 5
; WaveLimiterHint : 1
; COMPUTE_PGM_RSRC2:SCRATCH_EN: 0
; COMPUTE_PGM_RSRC2:USER_SGPR: 6
; COMPUTE_PGM_RSRC2:TRAP_HANDLER: 0
; COMPUTE_PGM_RSRC2:TGID_X_EN: 1
; COMPUTE_PGM_RSRC2:TGID_Y_EN: 0
; COMPUTE_PGM_RSRC2:TGID_Z_EN: 0
; COMPUTE_PGM_RSRC2:TIDIG_COMP_CNT: 0
	.text
	.p2alignl 6, 3214868480
	.fill 48, 4, 3214868480
	.type	__hip_cuid_8234d36808bf8142,@object ; @__hip_cuid_8234d36808bf8142
	.section	.bss,"aw",@nobits
	.globl	__hip_cuid_8234d36808bf8142
__hip_cuid_8234d36808bf8142:
	.byte	0                               ; 0x0
	.size	__hip_cuid_8234d36808bf8142, 1

	.ident	"AMD clang version 19.0.0git (https://github.com/RadeonOpenCompute/llvm-project roc-6.4.0 25133 c7fe45cf4b819c5991fe208aaa96edf142730f1d)"
	.section	".note.GNU-stack","",@progbits
	.addrsig
	.addrsig_sym __hip_cuid_8234d36808bf8142
	.amdgpu_metadata
---
amdhsa.kernels:
  - .args:
      - .actual_access:  read_only
        .address_space:  global
        .offset:         0
        .size:           8
        .value_kind:     global_buffer
      - .offset:         8
        .size:           8
        .value_kind:     by_value
      - .actual_access:  read_only
        .address_space:  global
        .offset:         16
        .size:           8
        .value_kind:     global_buffer
      - .actual_access:  read_only
        .address_space:  global
        .offset:         24
        .size:           8
        .value_kind:     global_buffer
      - .actual_access:  read_only
        .address_space:  global
        .offset:         32
        .size:           8
        .value_kind:     global_buffer
      - .offset:         40
        .size:           8
        .value_kind:     by_value
      - .actual_access:  read_only
        .address_space:  global
        .offset:         48
        .size:           8
        .value_kind:     global_buffer
      - .actual_access:  read_only
        .address_space:  global
        .offset:         56
        .size:           8
        .value_kind:     global_buffer
      - .offset:         64
        .size:           4
        .value_kind:     by_value
      - .actual_access:  read_only
        .address_space:  global
        .offset:         72
        .size:           8
        .value_kind:     global_buffer
      - .actual_access:  read_only
        .address_space:  global
        .offset:         80
        .size:           8
        .value_kind:     global_buffer
      - .actual_access:  read_only
        .address_space:  global
        .offset:         88
        .size:           8
        .value_kind:     global_buffer
      - .actual_access:  write_only
        .address_space:  global
        .offset:         96
        .size:           8
        .value_kind:     global_buffer
    .group_segment_fixed_size: 0
    .kernarg_segment_align: 8
    .kernarg_segment_size: 104
    .language:       OpenCL C
    .language_version:
      - 2
      - 0
    .max_flat_workgroup_size: 160
    .name:           fft_rtc_back_len3200_factors_10_10_4_4_2_wgs_160_tpt_160_halfLds_dp_op_CI_CI_unitstride_sbrr_dirReg
    .private_segment_fixed_size: 0
    .sgpr_count:     29
    .sgpr_spill_count: 0
    .symbol:         fft_rtc_back_len3200_factors_10_10_4_4_2_wgs_160_tpt_160_halfLds_dp_op_CI_CI_unitstride_sbrr_dirReg.kd
    .uniform_work_group_size: 1
    .uses_dynamic_stack: false
    .vgpr_count:     161
    .vgpr_spill_count: 0
    .wavefront_size: 32
    .workgroup_processor_mode: 1
amdhsa.target:   amdgcn-amd-amdhsa--gfx1030
amdhsa.version:
  - 1
  - 2
...

	.end_amdgpu_metadata
